;; amdgpu-corpus repo=ROCm/rocFFT kind=compiled arch=gfx906 opt=O3
	.text
	.amdgcn_target "amdgcn-amd-amdhsa--gfx906"
	.amdhsa_code_object_version 6
	.protected	fft_rtc_fwd_len1188_factors_6_11_2_3_3_wgs_198_tpt_66_halfLds_dp_ip_CI_sbrr_dirReg ; -- Begin function fft_rtc_fwd_len1188_factors_6_11_2_3_3_wgs_198_tpt_66_halfLds_dp_ip_CI_sbrr_dirReg
	.globl	fft_rtc_fwd_len1188_factors_6_11_2_3_3_wgs_198_tpt_66_halfLds_dp_ip_CI_sbrr_dirReg
	.p2align	8
	.type	fft_rtc_fwd_len1188_factors_6_11_2_3_3_wgs_198_tpt_66_halfLds_dp_ip_CI_sbrr_dirReg,@function
fft_rtc_fwd_len1188_factors_6_11_2_3_3_wgs_198_tpt_66_halfLds_dp_ip_CI_sbrr_dirReg: ; @fft_rtc_fwd_len1188_factors_6_11_2_3_3_wgs_198_tpt_66_halfLds_dp_ip_CI_sbrr_dirReg
; %bb.0:
	s_load_dwordx2 s[14:15], s[4:5], 0x18
	s_load_dwordx4 s[8:11], s[4:5], 0x0
	s_load_dwordx2 s[12:13], s[4:5], 0x50
	v_mul_u32_u24_e32 v1, 0x3e1, v0
	v_lshrrev_b32_e32 v1, 16, v1
	s_waitcnt lgkmcnt(0)
	s_load_dwordx2 s[2:3], s[14:15], 0x0
	v_mad_u64_u32 v[1:2], s[0:1], s6, 3, v[1:2]
	v_mov_b32_e32 v5, 0
	v_cmp_lt_u64_e64 s[0:1], s[10:11], 2
	v_mov_b32_e32 v2, v5
	v_mov_b32_e32 v3, 0
	;; [unrolled: 1-line block ×3, first 2 shown]
	s_and_b64 vcc, exec, s[0:1]
	v_mov_b32_e32 v4, 0
	v_mov_b32_e32 v9, v1
	s_cbranch_vccnz .LBB0_8
; %bb.1:
	s_load_dwordx2 s[0:1], s[4:5], 0x10
	s_add_u32 s6, s14, 8
	s_addc_u32 s7, s15, 0
	v_mov_b32_e32 v3, 0
	v_mov_b32_e32 v8, v2
	s_waitcnt lgkmcnt(0)
	s_add_u32 s18, s0, 8
	s_mov_b64 s[16:17], 1
	v_mov_b32_e32 v4, 0
	s_addc_u32 s19, s1, 0
	v_mov_b32_e32 v7, v1
.LBB0_2:                                ; =>This Inner Loop Header: Depth=1
	s_load_dwordx2 s[20:21], s[18:19], 0x0
                                        ; implicit-def: $vgpr9_vgpr10
	s_waitcnt lgkmcnt(0)
	v_or_b32_e32 v6, s21, v8
	v_cmp_ne_u64_e32 vcc, 0, v[5:6]
	s_and_saveexec_b64 s[0:1], vcc
	s_xor_b64 s[22:23], exec, s[0:1]
	s_cbranch_execz .LBB0_4
; %bb.3:                                ;   in Loop: Header=BB0_2 Depth=1
	v_cvt_f32_u32_e32 v2, s20
	v_cvt_f32_u32_e32 v6, s21
	s_sub_u32 s0, 0, s20
	s_subb_u32 s1, 0, s21
	v_mac_f32_e32 v2, 0x4f800000, v6
	v_rcp_f32_e32 v2, v2
	v_mul_f32_e32 v2, 0x5f7ffffc, v2
	v_mul_f32_e32 v6, 0x2f800000, v2
	v_trunc_f32_e32 v6, v6
	v_mac_f32_e32 v2, 0xcf800000, v6
	v_cvt_u32_f32_e32 v6, v6
	v_cvt_u32_f32_e32 v2, v2
	v_mul_lo_u32 v9, s0, v6
	v_mul_hi_u32 v10, s0, v2
	v_mul_lo_u32 v12, s1, v2
	v_mul_lo_u32 v11, s0, v2
	v_add_u32_e32 v9, v10, v9
	v_add_u32_e32 v9, v9, v12
	v_mul_hi_u32 v10, v2, v11
	v_mul_lo_u32 v12, v2, v9
	v_mul_hi_u32 v14, v2, v9
	v_mul_hi_u32 v13, v6, v11
	v_mul_lo_u32 v11, v6, v11
	v_mul_hi_u32 v15, v6, v9
	v_add_co_u32_e32 v10, vcc, v10, v12
	v_addc_co_u32_e32 v12, vcc, 0, v14, vcc
	v_mul_lo_u32 v9, v6, v9
	v_add_co_u32_e32 v10, vcc, v10, v11
	v_addc_co_u32_e32 v10, vcc, v12, v13, vcc
	v_addc_co_u32_e32 v11, vcc, 0, v15, vcc
	v_add_co_u32_e32 v9, vcc, v10, v9
	v_addc_co_u32_e32 v10, vcc, 0, v11, vcc
	v_add_co_u32_e32 v2, vcc, v2, v9
	v_addc_co_u32_e32 v6, vcc, v6, v10, vcc
	v_mul_lo_u32 v9, s0, v6
	v_mul_hi_u32 v10, s0, v2
	v_mul_lo_u32 v11, s1, v2
	v_mul_lo_u32 v12, s0, v2
	v_add_u32_e32 v9, v10, v9
	v_add_u32_e32 v9, v9, v11
	v_mul_lo_u32 v13, v2, v9
	v_mul_hi_u32 v14, v2, v12
	v_mul_hi_u32 v15, v2, v9
	;; [unrolled: 1-line block ×3, first 2 shown]
	v_mul_lo_u32 v12, v6, v12
	v_mul_hi_u32 v10, v6, v9
	v_add_co_u32_e32 v13, vcc, v14, v13
	v_addc_co_u32_e32 v14, vcc, 0, v15, vcc
	v_mul_lo_u32 v9, v6, v9
	v_add_co_u32_e32 v12, vcc, v13, v12
	v_addc_co_u32_e32 v11, vcc, v14, v11, vcc
	v_addc_co_u32_e32 v10, vcc, 0, v10, vcc
	v_add_co_u32_e32 v9, vcc, v11, v9
	v_addc_co_u32_e32 v10, vcc, 0, v10, vcc
	v_add_co_u32_e32 v2, vcc, v2, v9
	v_addc_co_u32_e32 v6, vcc, v6, v10, vcc
	v_mad_u64_u32 v[9:10], s[0:1], v7, v6, 0
	v_mul_hi_u32 v11, v7, v2
	v_add_co_u32_e32 v13, vcc, v11, v9
	v_addc_co_u32_e32 v14, vcc, 0, v10, vcc
	v_mad_u64_u32 v[9:10], s[0:1], v8, v2, 0
	v_mad_u64_u32 v[11:12], s[0:1], v8, v6, 0
	v_add_co_u32_e32 v2, vcc, v13, v9
	v_addc_co_u32_e32 v2, vcc, v14, v10, vcc
	v_addc_co_u32_e32 v6, vcc, 0, v12, vcc
	v_add_co_u32_e32 v2, vcc, v2, v11
	v_addc_co_u32_e32 v6, vcc, 0, v6, vcc
	v_mul_lo_u32 v11, s21, v2
	v_mul_lo_u32 v12, s20, v6
	v_mad_u64_u32 v[9:10], s[0:1], s20, v2, 0
	v_add3_u32 v10, v10, v12, v11
	v_sub_u32_e32 v11, v8, v10
	v_mov_b32_e32 v12, s21
	v_sub_co_u32_e32 v9, vcc, v7, v9
	v_subb_co_u32_e64 v11, s[0:1], v11, v12, vcc
	v_subrev_co_u32_e64 v12, s[0:1], s20, v9
	v_subbrev_co_u32_e64 v11, s[0:1], 0, v11, s[0:1]
	v_cmp_le_u32_e64 s[0:1], s21, v11
	v_cndmask_b32_e64 v13, 0, -1, s[0:1]
	v_cmp_le_u32_e64 s[0:1], s20, v12
	v_cndmask_b32_e64 v12, 0, -1, s[0:1]
	v_cmp_eq_u32_e64 s[0:1], s21, v11
	v_cndmask_b32_e64 v11, v13, v12, s[0:1]
	v_add_co_u32_e64 v12, s[0:1], 2, v2
	v_addc_co_u32_e64 v13, s[0:1], 0, v6, s[0:1]
	v_add_co_u32_e64 v14, s[0:1], 1, v2
	v_addc_co_u32_e64 v15, s[0:1], 0, v6, s[0:1]
	v_subb_co_u32_e32 v10, vcc, v8, v10, vcc
	v_cmp_ne_u32_e64 s[0:1], 0, v11
	v_cmp_le_u32_e32 vcc, s21, v10
	v_cndmask_b32_e64 v11, v15, v13, s[0:1]
	v_cndmask_b32_e64 v13, 0, -1, vcc
	v_cmp_le_u32_e32 vcc, s20, v9
	v_cndmask_b32_e64 v9, 0, -1, vcc
	v_cmp_eq_u32_e32 vcc, s21, v10
	v_cndmask_b32_e32 v9, v13, v9, vcc
	v_cmp_ne_u32_e32 vcc, 0, v9
	v_cndmask_b32_e32 v10, v6, v11, vcc
	v_cndmask_b32_e64 v6, v14, v12, s[0:1]
	v_cndmask_b32_e32 v9, v2, v6, vcc
.LBB0_4:                                ;   in Loop: Header=BB0_2 Depth=1
	s_andn2_saveexec_b64 s[0:1], s[22:23]
	s_cbranch_execz .LBB0_6
; %bb.5:                                ;   in Loop: Header=BB0_2 Depth=1
	v_cvt_f32_u32_e32 v2, s20
	s_sub_i32 s22, 0, s20
	v_rcp_iflag_f32_e32 v2, v2
	v_mul_f32_e32 v2, 0x4f7ffffe, v2
	v_cvt_u32_f32_e32 v2, v2
	v_mul_lo_u32 v6, s22, v2
	v_mul_hi_u32 v6, v2, v6
	v_add_u32_e32 v2, v2, v6
	v_mul_hi_u32 v2, v7, v2
	v_mul_lo_u32 v6, v2, s20
	v_add_u32_e32 v9, 1, v2
	v_sub_u32_e32 v6, v7, v6
	v_subrev_u32_e32 v10, s20, v6
	v_cmp_le_u32_e32 vcc, s20, v6
	v_cndmask_b32_e32 v6, v6, v10, vcc
	v_cndmask_b32_e32 v2, v2, v9, vcc
	v_add_u32_e32 v9, 1, v2
	v_cmp_le_u32_e32 vcc, s20, v6
	v_cndmask_b32_e32 v9, v2, v9, vcc
	v_mov_b32_e32 v10, v5
.LBB0_6:                                ;   in Loop: Header=BB0_2 Depth=1
	s_or_b64 exec, exec, s[0:1]
	v_mul_lo_u32 v2, v10, s20
	v_mul_lo_u32 v6, v9, s21
	v_mad_u64_u32 v[11:12], s[0:1], v9, s20, 0
	s_load_dwordx2 s[0:1], s[6:7], 0x0
	s_add_u32 s16, s16, 1
	v_add3_u32 v2, v12, v6, v2
	v_sub_co_u32_e32 v6, vcc, v7, v11
	v_subb_co_u32_e32 v2, vcc, v8, v2, vcc
	s_waitcnt lgkmcnt(0)
	v_mul_lo_u32 v2, s0, v2
	v_mul_lo_u32 v7, s1, v6
	v_mad_u64_u32 v[3:4], s[0:1], s0, v6, v[3:4]
	s_addc_u32 s17, s17, 0
	s_add_u32 s6, s6, 8
	v_add3_u32 v4, v7, v4, v2
	v_mov_b32_e32 v6, s10
	v_mov_b32_e32 v7, s11
	s_addc_u32 s7, s7, 0
	v_cmp_ge_u64_e32 vcc, s[16:17], v[6:7]
	s_add_u32 s18, s18, 8
	s_addc_u32 s19, s19, 0
	s_cbranch_vccnz .LBB0_8
; %bb.7:                                ;   in Loop: Header=BB0_2 Depth=1
	v_mov_b32_e32 v7, v9
	v_mov_b32_e32 v8, v10
	s_branch .LBB0_2
.LBB0_8:
	s_lshl_b64 s[0:1], s[10:11], 3
	s_add_u32 s0, s14, s0
	s_addc_u32 s1, s15, s1
	s_load_dwordx2 s[6:7], s[0:1], 0x0
	s_load_dwordx2 s[10:11], s[4:5], 0x20
                                        ; implicit-def: $vgpr132
                                        ; implicit-def: $vgpr130
	s_waitcnt lgkmcnt(0)
	v_mad_u64_u32 v[2:3], s[0:1], s6, v9, v[3:4]
	s_mov_b32 s0, 0x3e0f83f
	v_mul_hi_u32 v4, v0, s0
	v_mul_lo_u32 v5, s6, v10
	v_mul_lo_u32 v6, s7, v9
	v_cmp_gt_u64_e32 vcc, s[10:11], v[9:10]
	v_cmp_le_u64_e64 s[0:1], s[10:11], v[9:10]
	v_mul_u32_u24_e32 v4, 0x42, v4
	v_add3_u32 v3, v6, v3, v5
	v_sub_u32_e32 v116, v0, v4
	s_and_saveexec_b64 s[4:5], s[0:1]
	s_xor_b64 s[0:1], exec, s[4:5]
; %bb.9:
	v_add_u32_e32 v132, 0x42, v116
	v_add_u32_e32 v130, 0x84, v116
; %bb.10:
	s_or_saveexec_b64 s[4:5], s[0:1]
	v_lshlrev_b64 v[118:119], 4, v[2:3]
                                        ; implicit-def: $vgpr50_vgpr51
                                        ; implicit-def: $vgpr54_vgpr55
                                        ; implicit-def: $vgpr74_vgpr75
                                        ; implicit-def: $vgpr58_vgpr59
                                        ; implicit-def: $vgpr46_vgpr47
                                        ; implicit-def: $vgpr62_vgpr63
                                        ; implicit-def: $vgpr66_vgpr67
                                        ; implicit-def: $vgpr70_vgpr71
                                        ; implicit-def: $vgpr86_vgpr87
                                        ; implicit-def: $vgpr90_vgpr91
                                        ; implicit-def: $vgpr82_vgpr83
                                        ; implicit-def: $vgpr78_vgpr79
                                        ; implicit-def: $vgpr94_vgpr95
                                        ; implicit-def: $vgpr98_vgpr99
                                        ; implicit-def: $vgpr110_vgpr111
                                        ; implicit-def: $vgpr114_vgpr115
                                        ; implicit-def: $vgpr106_vgpr107
                                        ; implicit-def: $vgpr102_vgpr103
	s_xor_b64 exec, exec, s[4:5]
	s_cbranch_execz .LBB0_12
; %bb.11:
	v_mad_u64_u32 v[2:3], s[0:1], s2, v116, 0
	v_add_u32_e32 v7, 0xc6, v116
	v_mov_b32_e32 v6, s13
	v_mov_b32_e32 v0, v3
	v_mad_u64_u32 v[3:4], s[0:1], s3, v116, v[0:1]
	v_mad_u64_u32 v[4:5], s[0:1], s2, v7, 0
	v_add_co_u32_e64 v39, s[0:1], s12, v118
	v_mov_b32_e32 v0, v5
	v_addc_co_u32_e64 v40, s[0:1], v6, v119, s[0:1]
	v_mad_u64_u32 v[5:6], s[0:1], s3, v7, v[0:1]
	v_add_u32_e32 v8, 0x18c, v116
	v_mad_u64_u32 v[6:7], s[0:1], s2, v8, 0
	v_lshlrev_b64 v[2:3], 4, v[2:3]
	v_add_u32_e32 v10, 0x252, v116
	v_add_co_u32_e64 v2, s[0:1], v39, v2
	v_mov_b32_e32 v0, v7
	v_addc_co_u32_e64 v3, s[0:1], v40, v3, s[0:1]
	v_mad_u64_u32 v[7:8], s[0:1], s3, v8, v[0:1]
	v_mad_u64_u32 v[8:9], s[0:1], s2, v10, 0
	v_lshlrev_b64 v[4:5], 4, v[4:5]
	v_add_u32_e32 v12, 0x318, v116
	v_add_co_u32_e64 v4, s[0:1], v39, v4
	v_mov_b32_e32 v0, v9
	v_addc_co_u32_e64 v5, s[0:1], v40, v5, s[0:1]
	v_mad_u64_u32 v[9:10], s[0:1], s3, v10, v[0:1]
	v_mad_u64_u32 v[10:11], s[0:1], s2, v12, 0
	v_lshlrev_b64 v[6:7], 4, v[6:7]
	v_add_u32_e32 v14, 0x3de, v116
	v_add_co_u32_e64 v6, s[0:1], v39, v6
	v_mov_b32_e32 v0, v11
	v_addc_co_u32_e64 v7, s[0:1], v40, v7, s[0:1]
	v_mad_u64_u32 v[11:12], s[0:1], s3, v12, v[0:1]
	v_mad_u64_u32 v[12:13], s[0:1], s2, v14, 0
	v_lshlrev_b64 v[8:9], 4, v[8:9]
	v_add_u32_e32 v132, 0x42, v116
	v_add_co_u32_e64 v8, s[0:1], v39, v8
	v_mov_b32_e32 v0, v13
	v_addc_co_u32_e64 v9, s[0:1], v40, v9, s[0:1]
	v_mad_u64_u32 v[13:14], s[0:1], s3, v14, v[0:1]
	v_mad_u64_u32 v[14:15], s[0:1], s2, v132, 0
	v_lshlrev_b64 v[10:11], 4, v[10:11]
	v_add_u32_e32 v18, 0x108, v116
	v_add_co_u32_e64 v10, s[0:1], v39, v10
	v_mov_b32_e32 v0, v15
	v_addc_co_u32_e64 v11, s[0:1], v40, v11, s[0:1]
	v_mad_u64_u32 v[15:16], s[0:1], s3, v132, v[0:1]
	v_mad_u64_u32 v[16:17], s[0:1], s2, v18, 0
	v_lshlrev_b64 v[12:13], 4, v[12:13]
	v_add_u32_e32 v20, 0x1ce, v116
	v_add_co_u32_e64 v12, s[0:1], v39, v12
	v_mov_b32_e32 v0, v17
	v_addc_co_u32_e64 v13, s[0:1], v40, v13, s[0:1]
	v_mad_u64_u32 v[17:18], s[0:1], s3, v18, v[0:1]
	v_mad_u64_u32 v[18:19], s[0:1], s2, v20, 0
	v_lshlrev_b64 v[14:15], 4, v[14:15]
	v_add_u32_e32 v22, 0x294, v116
	v_add_co_u32_e64 v14, s[0:1], v39, v14
	v_mov_b32_e32 v0, v19
	v_addc_co_u32_e64 v15, s[0:1], v40, v15, s[0:1]
	v_mad_u64_u32 v[19:20], s[0:1], s3, v20, v[0:1]
	v_mad_u64_u32 v[20:21], s[0:1], s2, v22, 0
	v_lshlrev_b64 v[16:17], 4, v[16:17]
	v_add_u32_e32 v24, 0x35a, v116
	v_add_co_u32_e64 v16, s[0:1], v39, v16
	v_mov_b32_e32 v0, v21
	v_addc_co_u32_e64 v17, s[0:1], v40, v17, s[0:1]
	v_mad_u64_u32 v[21:22], s[0:1], s3, v22, v[0:1]
	v_mad_u64_u32 v[22:23], s[0:1], s2, v24, 0
	v_lshlrev_b64 v[18:19], 4, v[18:19]
	v_add_u32_e32 v26, 0x420, v116
	v_add_co_u32_e64 v18, s[0:1], v39, v18
	v_mov_b32_e32 v0, v23
	v_addc_co_u32_e64 v19, s[0:1], v40, v19, s[0:1]
	v_mad_u64_u32 v[23:24], s[0:1], s3, v24, v[0:1]
	v_mad_u64_u32 v[24:25], s[0:1], s2, v26, 0
	v_lshlrev_b64 v[20:21], 4, v[20:21]
	v_add_u32_e32 v130, 0x84, v116
	v_add_co_u32_e64 v20, s[0:1], v39, v20
	v_mov_b32_e32 v0, v25
	v_addc_co_u32_e64 v21, s[0:1], v40, v21, s[0:1]
	v_mad_u64_u32 v[25:26], s[0:1], s3, v26, v[0:1]
	v_mad_u64_u32 v[26:27], s[0:1], s2, v130, 0
	v_lshlrev_b64 v[22:23], 4, v[22:23]
	v_add_u32_e32 v30, 0x14a, v116
	v_add_co_u32_e64 v22, s[0:1], v39, v22
	v_mov_b32_e32 v0, v27
	v_addc_co_u32_e64 v23, s[0:1], v40, v23, s[0:1]
	v_mad_u64_u32 v[27:28], s[0:1], s3, v130, v[0:1]
	v_mad_u64_u32 v[28:29], s[0:1], s2, v30, 0
	v_lshlrev_b64 v[24:25], 4, v[24:25]
	v_add_u32_e32 v32, 0x210, v116
	v_add_co_u32_e64 v24, s[0:1], v39, v24
	v_mov_b32_e32 v0, v29
	v_addc_co_u32_e64 v25, s[0:1], v40, v25, s[0:1]
	v_mad_u64_u32 v[29:30], s[0:1], s3, v30, v[0:1]
	v_mad_u64_u32 v[30:31], s[0:1], s2, v32, 0
	v_lshlrev_b64 v[26:27], 4, v[26:27]
	v_add_u32_e32 v34, 0x2d6, v116
	v_add_co_u32_e64 v26, s[0:1], v39, v26
	v_mov_b32_e32 v0, v31
	v_addc_co_u32_e64 v27, s[0:1], v40, v27, s[0:1]
	v_mad_u64_u32 v[31:32], s[0:1], s3, v32, v[0:1]
	v_mad_u64_u32 v[32:33], s[0:1], s2, v34, 0
	v_lshlrev_b64 v[28:29], 4, v[28:29]
	v_add_u32_e32 v36, 0x39c, v116
	v_add_co_u32_e64 v28, s[0:1], v39, v28
	v_mov_b32_e32 v0, v33
	v_addc_co_u32_e64 v29, s[0:1], v40, v29, s[0:1]
	v_mad_u64_u32 v[33:34], s[0:1], s3, v34, v[0:1]
	v_mad_u64_u32 v[34:35], s[0:1], s2, v36, 0
	v_lshlrev_b64 v[30:31], 4, v[30:31]
	v_add_u32_e32 v38, 0x462, v116
	v_add_co_u32_e64 v30, s[0:1], v39, v30
	v_mov_b32_e32 v0, v35
	v_addc_co_u32_e64 v31, s[0:1], v40, v31, s[0:1]
	v_mad_u64_u32 v[35:36], s[0:1], s3, v36, v[0:1]
	v_mad_u64_u32 v[36:37], s[0:1], s2, v38, 0
	v_lshlrev_b64 v[32:33], 4, v[32:33]
	v_lshlrev_b64 v[34:35], 4, v[34:35]
	v_add_co_u32_e64 v32, s[0:1], v39, v32
	v_mov_b32_e32 v0, v37
	v_addc_co_u32_e64 v33, s[0:1], v40, v33, s[0:1]
	v_mad_u64_u32 v[37:38], s[0:1], s3, v38, v[0:1]
	v_add_co_u32_e64 v34, s[0:1], v39, v34
	v_lshlrev_b64 v[36:37], 4, v[36:37]
	v_addc_co_u32_e64 v35, s[0:1], v40, v35, s[0:1]
	v_add_co_u32_e64 v36, s[0:1], v39, v36
	v_addc_co_u32_e64 v37, s[0:1], v40, v37, s[0:1]
	global_load_dwordx4 v[100:103], v[2:3], off
	global_load_dwordx4 v[104:107], v[4:5], off
	;; [unrolled: 1-line block ×15, first 2 shown]
                                        ; kill: killed $vgpr10 killed $vgpr11
                                        ; kill: killed $vgpr18 killed $vgpr19
                                        ; kill: killed $vgpr12 killed $vgpr13
                                        ; kill: killed $vgpr26 killed $vgpr27
                                        ; kill: killed $vgpr20 killed $vgpr21
                                        ; kill: killed $vgpr28 killed $vgpr29
                                        ; kill: killed $vgpr22 killed $vgpr23
                                        ; kill: killed $vgpr30 killed $vgpr31
                                        ; kill: killed $vgpr24 killed $vgpr25
                                        ; kill: killed $vgpr2 killed $vgpr3
                                        ; kill: killed $vgpr4 killed $vgpr5
                                        ; kill: killed $vgpr6 killed $vgpr7
                                        ; kill: killed $vgpr14 killed $vgpr15
                                        ; kill: killed $vgpr8 killed $vgpr9
                                        ; kill: killed $vgpr16 killed $vgpr17
	global_load_dwordx4 v[72:75], v[32:33], off
	global_load_dwordx4 v[52:55], v[34:35], off
	;; [unrolled: 1-line block ×3, first 2 shown]
.LBB0_12:
	s_or_b64 exec, exec, s[4:5]
	s_waitcnt vmcnt(12)
	v_add_f64 v[2:3], v[92:93], v[108:109]
	v_add_f64 v[6:7], v[94:95], v[110:111]
	v_add_f64 v[8:9], v[110:111], -v[94:95]
	s_mov_b32 s4, 0xe8584caa
	s_mov_b32 s5, 0x3febb67a
	;; [unrolled: 1-line block ×4, first 2 shown]
	v_add_f64 v[4:5], v[96:97], v[112:113]
	v_fma_f64 v[2:3], v[2:3], -0.5, v[104:105]
	v_add_f64 v[12:13], v[108:109], -v[92:93]
	v_add_f64 v[16:17], v[108:109], v[104:105]
	v_fma_f64 v[6:7], v[6:7], -0.5, v[106:107]
	v_add_f64 v[10:11], v[114:115], -v[98:99]
	v_add_f64 v[14:15], v[112:113], v[100:101]
	s_waitcnt vmcnt(6)
	v_add_f64 v[20:21], v[66:67], v[86:87]
	v_fma_f64 v[4:5], v[4:5], -0.5, v[100:101]
	v_fma_f64 v[108:109], v[8:9], s[4:5], v[2:3]
	v_fma_f64 v[104:105], v[8:9], s[6:7], v[2:3]
	v_add_f64 v[2:3], v[68:69], v[88:89]
	v_fma_f64 v[120:121], v[12:13], s[6:7], v[6:7]
	v_fma_f64 v[126:127], v[12:13], s[4:5], v[6:7]
	v_add_f64 v[8:9], v[90:91], -v[70:71]
	v_add_f64 v[18:19], v[64:65], v[84:85]
	v_fma_f64 v[26:27], v[10:11], s[4:5], v[4:5]
	v_mul_f64 v[6:7], v[108:109], 0.5
	v_mul_f64 v[12:13], v[104:105], -0.5
	v_fma_f64 v[4:5], v[10:11], s[6:7], v[4:5]
	v_fma_f64 v[2:3], v[2:3], -0.5, v[76:77]
	v_add_f64 v[14:15], v[96:97], v[14:15]
	v_add_f64 v[16:17], v[92:93], v[16:17]
	v_fma_f64 v[34:35], v[20:21], -0.5, v[82:83]
	v_add_f64 v[30:31], v[86:87], -v[66:67]
	v_fma_f64 v[6:7], v[120:121], s[4:5], v[6:7]
	v_fma_f64 v[10:11], v[126:127], s[4:5], v[12:13]
	v_add_f64 v[12:13], v[84:85], -v[64:65]
	v_fma_f64 v[32:33], v[18:19], -0.5, v[80:81]
	s_waitcnt vmcnt(1)
	v_add_f64 v[42:43], v[58:59], -v[54:55]
	v_add_f64 v[18:19], v[16:17], v[14:15]
	v_add_f64 v[24:25], v[14:15], -v[16:17]
	s_waitcnt vmcnt(0)
	v_add_f64 v[16:17], v[74:75], -v[50:51]
	v_add_f64 v[20:21], v[26:27], v[6:7]
	v_add_f64 v[22:23], v[4:5], v[10:11]
	v_add_f64 v[26:27], v[26:27], -v[6:7]
	v_add_f64 v[28:29], v[4:5], -v[10:11]
	v_fma_f64 v[4:5], v[8:9], s[4:5], v[2:3]
	v_fma_f64 v[6:7], v[8:9], s[6:7], v[2:3]
	v_add_f64 v[2:3], v[48:49], v[72:73]
	v_add_f64 v[10:11], v[50:51], v[74:75]
	v_fma_f64 v[124:125], v[12:13], s[6:7], v[34:35]
	v_fma_f64 v[128:129], v[12:13], s[4:5], v[34:35]
	v_add_f64 v[12:13], v[84:85], v[80:81]
	v_fma_f64 v[100:101], v[30:31], s[4:5], v[32:33]
	v_fma_f64 v[122:123], v[30:31], s[6:7], v[32:33]
	v_add_f64 v[32:33], v[52:53], v[56:57]
	v_fma_f64 v[2:3], v[2:3], -0.5, v[44:45]
	v_fma_f64 v[10:11], v[10:11], -0.5, v[46:47]
	v_add_f64 v[34:35], v[72:73], -v[48:49]
	v_add_f64 v[8:9], v[88:89], v[76:77]
	v_add_f64 v[12:13], v[64:65], v[12:13]
	v_mul_f64 v[14:15], v[100:101], 0.5
	v_mul_f64 v[30:31], v[122:123], -0.5
	v_fma_f64 v[40:41], v[32:33], -0.5, v[60:61]
	v_fma_f64 v[80:81], v[16:17], s[4:5], v[2:3]
	v_fma_f64 v[64:65], v[16:17], s[6:7], v[2:3]
	;; [unrolled: 1-line block ×3, first 2 shown]
	v_add_f64 v[2:3], v[56:57], v[60:61]
	v_add_f64 v[16:17], v[72:73], v[44:45]
	v_fma_f64 v[60:61], v[34:35], s[4:5], v[10:11]
	v_add_f64 v[8:9], v[68:69], v[8:9]
	v_fma_f64 v[14:15], v[124:125], s[4:5], v[14:15]
	v_mul_f64 v[36:37], v[80:81], 0.5
	v_mul_f64 v[10:11], v[64:65], -0.5
	v_fma_f64 v[38:39], v[128:129], s[4:5], v[30:31]
	v_fma_f64 v[44:45], v[42:43], s[4:5], v[40:41]
	v_add_f64 v[72:73], v[52:53], v[2:3]
	v_add_f64 v[16:17], v[48:49], v[16:17]
	v_fma_f64 v[40:41], v[42:43], s[6:7], v[40:41]
	s_mov_b32 s0, 0xaaaaaaab
	v_fma_f64 v[48:49], v[76:77], s[4:5], v[36:37]
	v_fma_f64 v[42:43], v[60:61], s[4:5], v[10:11]
	v_mul_hi_u32 v0, v1, s0
	v_add_f64 v[30:31], v[12:13], v[8:9]
	v_add_f64 v[32:33], v[4:5], v[14:15]
	v_add_f64 v[36:37], v[8:9], -v[12:13]
	v_lshrrev_b32_e32 v0, 1, v0
	v_lshl_add_u32 v0, v0, 1, v0
	v_add_f64 v[34:35], v[6:7], v[38:39]
	v_add_f64 v[2:3], v[4:5], -v[14:15]
	v_add_f64 v[4:5], v[6:7], -v[38:39]
	v_add_f64 v[6:7], v[16:17], v[72:73]
	v_add_f64 v[8:9], v[44:45], v[48:49]
	v_sub_u32_e32 v0, v1, v0
	v_add_f64 v[12:13], v[72:73], -v[16:17]
	v_add_f64 v[10:11], v[40:41], v[42:43]
	v_mul_u32_u24_e32 v0, 0x4a4, v0
	v_add_f64 v[14:15], v[44:45], -v[48:49]
	v_add_f64 v[16:17], v[40:41], -v[42:43]
	v_lshlrev_b32_e32 v134, 3, v0
	v_mul_u32_u24_e32 v0, 6, v116
	v_add_u32_e32 v1, 0, v134
	v_lshl_add_u32 v72, v0, 3, v1
	v_mul_i32_i24_e32 v0, 6, v132
	v_lshl_add_u32 v73, v0, 3, v1
	v_mul_i32_i24_e32 v0, 6, v130
	v_lshl_add_u32 v84, v0, 3, v1
	v_lshlrev_b32_e32 v0, 3, v116
	v_add_u32_e32 v133, v1, v0
	v_add3_u32 v131, 0, v0, v134
	ds_write_b128 v72, v[18:21]
	ds_write_b128 v72, v[22:25] offset:16
	ds_write_b128 v72, v[26:29] offset:32
	ds_write_b128 v73, v[30:33]
	ds_write_b128 v73, v[34:37] offset:16
	ds_write_b128 v73, v[2:5] offset:32
	;; [unrolled: 3-line block ×3, first 2 shown]
	s_waitcnt lgkmcnt(0)
	s_barrier
	v_add_u32_e32 v135, 0x800, v131
	v_add_u32_e32 v136, 0x1000, v131
	;; [unrolled: 1-line block ×4, first 2 shown]
	ds_read_b64 v[92:93], v133
	ds_read2_b64 v[42:45], v131 offset0:108 offset1:216
	ds_read2_b64 v[38:41], v135 offset0:68 offset1:176
	;; [unrolled: 1-line block ×5, first 2 shown]
	v_cmp_gt_u32_e64 s[0:1], 42, v116
	v_lshlrev_b32_e32 v117, 3, v132
                                        ; implicit-def: $vgpr20_vgpr21
                                        ; implicit-def: $vgpr28_vgpr29
	s_and_saveexec_b64 s[10:11], s[0:1]
	s_cbranch_execz .LBB0_14
; %bb.13:
	v_add3_u32 v0, 0, v117, v134
	ds_read_b64 v[4:5], v0
	v_add_u32_e32 v0, 0x400, v131
	ds_read2_b64 v[6:9], v0 offset0:46 offset1:154
	ds_read2_b64 v[10:13], v135 offset0:134 offset1:242
	;; [unrolled: 1-line block ×3, first 2 shown]
	v_add_u32_e32 v0, 0x1800, v131
	ds_read2_b64 v[26:29], v0 offset0:54 offset1:162
	v_add_u32_e32 v0, 0x2000, v131
	ds_read2_b64 v[18:21], v0 offset0:14 offset1:122
.LBB0_14:
	s_or_b64 exec, exec, s[10:11]
	v_add_f64 v[0:1], v[98:99], v[114:115]
	v_add_f64 v[2:3], v[114:115], v[102:103]
	v_add_f64 v[48:49], v[112:113], -v[96:97]
	v_add_f64 v[96:97], v[110:111], v[106:107]
	v_mul_f64 v[106:107], v[108:109], s[6:7]
	v_mul_f64 v[108:109], v[126:127], -0.5
	v_add_f64 v[110:111], v[90:91], v[78:79]
	v_add_f64 v[90:91], v[70:71], v[90:91]
	v_fma_f64 v[0:1], v[0:1], -0.5, v[102:103]
	v_add_f64 v[2:3], v[98:99], v[2:3]
	v_add_f64 v[52:53], v[56:57], -v[52:53]
	v_add_f64 v[94:95], v[94:95], v[96:97]
	v_add_f64 v[46:47], v[74:75], v[46:47]
	v_fma_f64 v[104:105], v[104:105], s[6:7], v[108:109]
	v_mul_f64 v[56:57], v[80:81], s[6:7]
	v_fma_f64 v[78:79], v[90:91], -0.5, v[78:79]
	v_fma_f64 v[102:103], v[48:49], s[6:7], v[0:1]
	v_fma_f64 v[0:1], v[48:49], s[4:5], v[0:1]
	v_add_f64 v[48:49], v[88:89], -v[68:69]
	v_add_f64 v[68:69], v[86:87], v[82:83]
	v_add_f64 v[82:83], v[54:55], v[58:59]
	;; [unrolled: 1-line block ×3, first 2 shown]
	v_add_f64 v[96:97], v[2:3], -v[94:95]
	v_mul_f64 v[60:61], v[60:61], -0.5
	v_fma_f64 v[98:99], v[120:121], 0.5, v[106:107]
	v_add_f64 v[94:95], v[0:1], v[104:105]
	v_add_f64 v[104:105], v[0:1], -v[104:105]
	v_add_f64 v[2:3], v[66:67], v[68:69]
	v_mul_f64 v[68:69], v[100:101], s[6:7]
	v_add_f64 v[0:1], v[70:71], v[110:111]
	v_mul_f64 v[70:71], v[128:129], -0.5
	v_fma_f64 v[66:67], v[48:49], s[6:7], v[78:79]
	v_fma_f64 v[48:49], v[48:49], s[4:5], v[78:79]
	v_add_f64 v[78:79], v[58:59], v[62:63]
	v_fma_f64 v[62:63], v[82:83], -0.5, v[62:63]
	v_fma_f64 v[56:57], v[76:77], 0.5, v[56:57]
	v_fma_f64 v[68:69], v[124:125], 0.5, v[68:69]
	v_fma_f64 v[76:77], v[64:65], s[6:7], v[60:61]
	v_fma_f64 v[70:71], v[122:123], s[6:7], v[70:71]
	v_add_f64 v[87:88], v[102:103], v[98:99]
	v_add_f64 v[102:103], v[102:103], -v[98:99]
	v_add_f64 v[54:55], v[54:55], v[78:79]
	v_fma_f64 v[74:75], v[52:53], s[6:7], v[62:63]
	v_fma_f64 v[78:79], v[52:53], s[4:5], v[62:63]
	v_add_f64 v[52:53], v[50:51], v[46:47]
	v_add_f64 v[58:59], v[2:3], v[0:1]
	;; [unrolled: 1-line block ×4, first 2 shown]
	v_add_f64 v[64:65], v[0:1], -v[2:3]
	v_add_f64 v[0:1], v[66:67], -v[68:69]
	;; [unrolled: 1-line block ×3, first 2 shown]
	v_add_f64 v[48:49], v[74:75], v[56:57]
	v_add_f64 v[46:47], v[52:53], v[54:55]
	;; [unrolled: 1-line block ×3, first 2 shown]
	v_add_f64 v[52:53], v[54:55], -v[52:53]
	v_add_f64 v[54:55], v[74:75], -v[56:57]
	v_add_f64 v[56:57], v[78:79], -v[76:77]
	s_waitcnt lgkmcnt(0)
	s_barrier
	ds_write_b128 v72, v[85:88]
	ds_write_b128 v72, v[94:97] offset:16
	ds_write_b128 v72, v[102:105] offset:32
	ds_write_b128 v73, v[58:61]
	ds_write_b128 v73, v[62:65] offset:16
	ds_write_b128 v73, v[0:3] offset:32
	;; [unrolled: 3-line block ×3, first 2 shown]
	s_waitcnt lgkmcnt(0)
	s_barrier
	ds_read_b64 v[0:1], v133
	ds_read2_b64 v[82:85], v131 offset0:108 offset1:216
	ds_read2_b64 v[78:81], v135 offset0:68 offset1:176
	;; [unrolled: 1-line block ×5, first 2 shown]
                                        ; implicit-def: $vgpr60_vgpr61
                                        ; implicit-def: $vgpr68_vgpr69
	s_and_saveexec_b64 s[4:5], s[0:1]
	s_cbranch_execz .LBB0_16
; %bb.15:
	v_add_u32_e32 v58, 0x1800, v131
	v_add3_u32 v2, 0, v117, v134
	v_add_u32_e32 v46, 0x400, v131
	v_add_u32_e32 v50, 0x800, v131
	v_add_u32_e32 v54, 0x1000, v131
	ds_read2_b64 v[66:69], v58 offset0:54 offset1:162
	v_add_u32_e32 v58, 0x2000, v131
	ds_read_b64 v[2:3], v2
	ds_read2_b64 v[46:49], v46 offset0:46 offset1:154
	ds_read2_b64 v[50:53], v50 offset0:134 offset1:242
	;; [unrolled: 1-line block ×4, first 2 shown]
.LBB0_16:
	s_or_b64 exec, exec, s[4:5]
	s_movk_i32 s4, 0xab
	v_mul_lo_u16_sdwa v86, v116, s4 dst_sel:DWORD dst_unused:UNUSED_PAD src0_sel:BYTE_0 src1_sel:DWORD
	v_lshrrev_b16_e32 v114, 10, v86
	v_mul_lo_u16_e32 v86, 6, v114
	v_sub_u16_e32 v115, v116, v86
	v_mov_b32_e32 v90, 10
	v_mul_u32_u24_sdwa v86, v115, v90 dst_sel:DWORD dst_unused:UNUSED_PAD src0_sel:BYTE_0 src1_sel:DWORD
	v_lshlrev_b32_e32 v91, 4, v86
	global_load_dwordx4 v[86:89], v91, s[8:9]
	global_load_dwordx4 v[94:97], v91, s[8:9] offset:16
	global_load_dwordx4 v[102:105], v91, s[8:9] offset:32
	;; [unrolled: 1-line block ×7, first 2 shown]
	v_mul_lo_u16_sdwa v98, v132, s4 dst_sel:DWORD dst_unused:UNUSED_PAD src0_sel:BYTE_0 src1_sel:DWORD
	v_lshrrev_b16_e32 v112, 10, v98
	v_mul_lo_u16_e32 v98, 6, v112
	v_sub_u16_e32 v113, v132, v98
	v_mul_u32_u24_sdwa v90, v113, v90 dst_sel:DWORD dst_unused:UNUSED_PAD src0_sel:BYTE_0 src1_sel:DWORD
	v_lshlrev_b32_e32 v90, 4, v90
	global_load_dwordx4 v[143:146], v91, s[8:9] offset:144
	global_load_dwordx4 v[147:150], v91, s[8:9] offset:128
	global_load_dwordx4 v[151:154], v90, s[8:9]
	global_load_dwordx4 v[155:158], v90, s[8:9] offset:16
	global_load_dwordx4 v[159:162], v90, s[8:9] offset:32
	;; [unrolled: 1-line block ×9, first 2 shown]
	s_mov_b32 s20, 0xf8bb580b
	s_mov_b32 s21, 0xbfe14ced
	;; [unrolled: 1-line block ×28, first 2 shown]
	s_movk_i32 s33, 0x210
	s_waitcnt vmcnt(0) lgkmcnt(0)
	s_barrier
	v_mul_f64 v[90:91], v[82:83], v[88:89]
	v_mul_f64 v[98:99], v[84:85], v[96:97]
	;; [unrolled: 1-line block ×8, first 2 shown]
	v_fma_f64 v[108:109], v[42:43], v[86:87], -v[90:91]
	v_mul_f64 v[122:123], v[34:35], v[122:123]
	v_mul_f64 v[201:202], v[72:73], v[137:138]
	v_fma_f64 v[104:105], v[44:45], v[94:95], -v[98:99]
	v_fma_f64 v[98:99], v[84:85], v[94:95], v[96:97]
	v_fma_f64 v[84:85], v[80:81], v[106:107], v[193:194]
	v_fma_f64 v[80:81], v[34:35], v[120:121], -v[195:196]
	v_mul_f64 v[88:89], v[42:43], v[88:89]
	v_add_f64 v[34:35], v[92:93], v[108:109]
	v_mul_f64 v[137:138], v[32:33], v[137:138]
	v_mul_f64 v[207:208], v[46:47], v[153:154]
	v_fma_f64 v[100:101], v[38:39], v[102:103], -v[100:101]
	v_fma_f64 v[96:97], v[78:79], v[102:103], v[128:129]
	v_fma_f64 v[102:103], v[32:33], v[135:136], -v[201:202]
	v_mul_f64 v[153:154], v[6:7], v[153:154]
	v_fma_f64 v[110:111], v[82:83], v[86:87], v[88:89]
	v_add_f64 v[32:33], v[34:35], v[104:105]
	v_fma_f64 v[86:87], v[40:41], v[106:107], -v[191:192]
	v_fma_f64 v[94:95], v[72:73], v[135:136], v[137:138]
	v_fma_f64 v[72:73], v[6:7], v[151:152], -v[207:208]
	v_mul_f64 v[197:198], v[76:77], v[126:127]
	v_mul_f64 v[203:204], v[62:63], v[149:150]
	;; [unrolled: 1-line block ×4, first 2 shown]
	v_add_f64 v[6:7], v[32:33], v[100:101]
	v_mul_f64 v[199:200], v[70:71], v[141:142]
	v_mul_f64 v[149:150], v[22:23], v[149:150]
	;; [unrolled: 1-line block ×3, first 2 shown]
	v_fma_f64 v[82:83], v[36:37], v[124:125], -v[197:198]
	v_fma_f64 v[106:107], v[22:23], v[147:148], -v[203:204]
	v_mul_f64 v[157:158], v[8:9], v[157:158]
	v_fma_f64 v[22:23], v[64:65], v[143:144], v[145:146]
	v_add_f64 v[6:7], v[6:7], v[86:87]
	v_mul_f64 v[211:212], v[50:51], v[161:162]
	v_mul_f64 v[213:214], v[52:53], v[165:166]
	;; [unrolled: 1-line block ×3, first 2 shown]
	v_fma_f64 v[88:89], v[30:31], v[139:140], -v[199:200]
	v_fma_f64 v[90:91], v[62:63], v[147:148], v[149:150]
	v_fma_f64 v[24:25], v[24:25], v[143:144], -v[205:206]
	v_fma_f64 v[64:65], v[8:9], v[155:156], -v[209:210]
	v_add_f64 v[6:7], v[6:7], v[80:81]
	v_add_f64 v[8:9], v[110:111], -v[22:23]
	v_mul_f64 v[141:142], v[30:31], v[141:142]
	v_mul_f64 v[161:162], v[10:11], v[161:162]
	;; [unrolled: 1-line block ×6, first 2 shown]
	v_add_f64 v[6:7], v[6:7], v[82:83]
	v_mul_f64 v[177:178], v[26:27], v[177:178]
	v_mul_f64 v[221:222], v[68:69], v[181:182]
	;; [unrolled: 1-line block ×6, first 2 shown]
	v_fma_f64 v[62:63], v[10:11], v[159:160], -v[211:212]
	v_fma_f64 v[42:43], v[12:13], v[163:164], -v[213:214]
	;; [unrolled: 1-line block ×3, first 2 shown]
	v_add_f64 v[10:11], v[108:109], v[24:25]
	v_add_f64 v[12:13], v[98:99], -v[90:91]
	v_mul_f64 v[16:17], v[8:9], s[20:21]
	v_add_f64 v[6:7], v[6:7], v[88:89]
	v_mul_f64 v[126:127], v[36:37], v[126:127]
	v_mul_f64 v[169:170], v[14:15], v[169:170]
	;; [unrolled: 1-line block ×3, first 2 shown]
	v_fma_f64 v[78:79], v[74:75], v[120:121], v[122:123]
	v_fma_f64 v[30:31], v[70:71], v[139:140], v[141:142]
	v_fma_f64 v[74:75], v[46:47], v[151:152], v[153:154]
	v_fma_f64 v[70:71], v[48:49], v[155:156], v[157:158]
	v_fma_f64 v[48:49], v[50:51], v[159:160], v[161:162]
	v_fma_f64 v[40:41], v[52:53], v[163:164], v[165:166]
	v_fma_f64 v[36:37], v[14:15], v[167:168], -v[215:216]
	v_fma_f64 v[34:35], v[56:57], v[171:172], v[173:174]
	v_fma_f64 v[46:47], v[26:27], v[175:176], -v[219:220]
	v_fma_f64 v[44:45], v[66:67], v[175:176], v[177:178]
	;; [unrolled: 2-line block ×4, first 2 shown]
	v_fma_f64 v[58:59], v[20:21], v[187:188], -v[225:226]
	v_add_f64 v[14:15], v[104:105], v[106:107]
	v_mul_f64 v[18:19], v[8:9], s[26:27]
	v_mul_f64 v[20:21], v[8:9], s[14:15]
	;; [unrolled: 1-line block ×5, first 2 shown]
	v_fma_f64 v[68:69], v[10:11], s[4:5], -v[16:17]
	v_fma_f64 v[16:17], v[10:11], s[4:5], v[16:17]
	v_add_f64 v[6:7], v[6:7], v[102:103]
	v_fma_f64 v[76:77], v[76:77], v[124:125], v[126:127]
	v_fma_f64 v[32:33], v[54:55], v[167:168], v[169:170]
	;; [unrolled: 1-line block ×3, first 2 shown]
	v_mul_f64 v[60:61], v[12:13], s[18:19]
	v_fma_f64 v[120:121], v[10:11], s[6:7], -v[18:19]
	v_fma_f64 v[18:19], v[10:11], s[6:7], v[18:19]
	v_fma_f64 v[122:123], v[10:11], s[10:11], -v[20:21]
	v_fma_f64 v[20:21], v[10:11], s[10:11], v[20:21]
	;; [unrolled: 2-line block ×5, first 2 shown]
	v_add_f64 v[68:69], v[92:93], v[68:69]
	v_add_f64 v[16:17], v[92:93], v[16:17]
	;; [unrolled: 1-line block ×14, first 2 shown]
	v_fma_f64 v[16:17], v[14:15], s[16:17], -v[60:61]
	v_fma_f64 v[28:29], v[14:15], s[16:17], v[60:61]
	v_mul_f64 v[60:61], v[12:13], s[36:37]
	v_mul_f64 v[68:69], v[12:13], s[34:35]
	v_add_f64 v[92:93], v[96:97], -v[94:95]
	v_mul_f64 v[12:13], v[12:13], s[28:29]
	v_add_f64 v[137:138], v[100:101], v[102:103]
	v_add_f64 v[16:17], v[16:17], v[120:121]
	;; [unrolled: 1-line block ×3, first 2 shown]
	v_fma_f64 v[120:121], v[14:15], s[22:23], -v[60:61]
	v_fma_f64 v[60:61], v[14:15], s[22:23], v[60:61]
	v_fma_f64 v[135:136], v[14:15], s[10:11], -v[68:69]
	v_fma_f64 v[68:69], v[14:15], s[10:11], v[68:69]
	v_mul_f64 v[139:140], v[92:93], s[14:15]
	v_fma_f64 v[28:29], v[14:15], s[4:5], -v[12:13]
	v_fma_f64 v[12:13], v[14:15], s[4:5], v[12:13]
	v_add_f64 v[120:121], v[120:121], v[122:123]
	v_add_f64 v[20:21], v[60:61], v[20:21]
	;; [unrolled: 1-line block ×4, first 2 shown]
	v_mul_f64 v[68:69], v[92:93], s[36:37]
	v_fma_f64 v[14:15], v[137:138], s[10:11], -v[139:140]
	v_fma_f64 v[122:123], v[137:138], s[10:11], v[139:140]
	v_mul_f64 v[124:125], v[92:93], s[30:31]
	v_add_f64 v[28:29], v[28:29], v[126:127]
	v_add_f64 v[6:7], v[12:13], v[6:7]
	v_add_f64 v[12:13], v[84:85], -v[30:31]
	v_fma_f64 v[126:127], v[137:138], s[22:23], -v[68:69]
	v_fma_f64 v[68:69], v[137:138], s[22:23], v[68:69]
	v_add_f64 v[8:9], v[14:15], v[8:9]
	v_add_f64 v[10:11], v[122:123], v[10:11]
	v_mul_f64 v[14:15], v[92:93], s[20:21]
	v_fma_f64 v[122:123], v[137:138], s[6:7], -v[124:125]
	v_add_f64 v[16:17], v[126:127], v[16:17]
	v_add_f64 v[18:19], v[68:69], v[18:19]
	v_mul_f64 v[68:69], v[92:93], s[18:19]
	v_fma_f64 v[92:93], v[137:138], s[6:7], v[124:125]
	v_add_f64 v[124:125], v[86:87], v[88:89]
	v_mul_f64 v[126:127], v[12:13], s[18:19]
	v_fma_f64 v[135:136], v[137:138], s[4:5], -v[14:15]
	v_add_f64 v[120:121], v[122:123], v[120:121]
	v_fma_f64 v[14:15], v[137:138], s[4:5], v[14:15]
	v_mul_f64 v[122:123], v[12:13], s[34:35]
	v_fma_f64 v[139:140], v[137:138], s[16:17], -v[68:69]
	v_add_f64 v[20:21], v[92:93], v[20:21]
	v_fma_f64 v[68:69], v[137:138], s[16:17], v[68:69]
	v_fma_f64 v[92:93], v[124:125], s[16:17], -v[126:127]
	v_add_f64 v[60:61], v[135:136], v[60:61]
	v_mul_f64 v[135:136], v[12:13], s[20:21]
	v_add_f64 v[14:15], v[14:15], v[26:27]
	v_fma_f64 v[26:27], v[124:125], s[10:11], -v[122:123]
	v_fma_f64 v[126:127], v[124:125], s[16:17], v[126:127]
	v_add_f64 v[28:29], v[139:140], v[28:29]
	v_add_f64 v[6:7], v[68:69], v[6:7]
	;; [unrolled: 1-line block ×3, first 2 shown]
	v_mul_f64 v[68:69], v[12:13], s[24:25]
	v_add_f64 v[92:93], v[78:79], -v[76:77]
	v_mul_f64 v[12:13], v[12:13], s[30:31]
	v_add_f64 v[16:17], v[26:27], v[16:17]
	v_fma_f64 v[26:27], v[124:125], s[10:11], v[122:123]
	v_fma_f64 v[122:123], v[124:125], s[4:5], -v[135:136]
	v_add_f64 v[10:11], v[126:127], v[10:11]
	v_fma_f64 v[126:127], v[124:125], s[4:5], v[135:136]
	v_fma_f64 v[135:136], v[124:125], s[22:23], -v[68:69]
	v_add_f64 v[137:138], v[80:81], v[82:83]
	v_mul_f64 v[139:140], v[92:93], s[24:25]
	v_fma_f64 v[68:69], v[124:125], s[22:23], v[68:69]
	v_add_f64 v[18:19], v[26:27], v[18:19]
	v_add_f64 v[26:27], v[122:123], v[120:121]
	v_fma_f64 v[120:121], v[124:125], s[6:7], -v[12:13]
	v_fma_f64 v[12:13], v[124:125], s[6:7], v[12:13]
	v_mul_f64 v[124:125], v[92:93], s[28:29]
	v_add_f64 v[20:21], v[126:127], v[20:21]
	v_fma_f64 v[122:123], v[137:138], s[22:23], -v[139:140]
	v_add_f64 v[14:15], v[68:69], v[14:15]
	v_fma_f64 v[68:69], v[137:138], s[22:23], v[139:140]
	v_add_f64 v[60:61], v[135:136], v[60:61]
	v_add_f64 v[28:29], v[120:121], v[28:29]
	v_mul_f64 v[120:121], v[92:93], s[18:19]
	v_add_f64 v[6:7], v[12:13], v[6:7]
	v_mul_f64 v[12:13], v[92:93], s[30:31]
	v_mul_f64 v[92:93], v[92:93], s[14:15]
	v_add_f64 v[8:9], v[122:123], v[8:9]
	v_add_f64 v[10:11], v[68:69], v[10:11]
	v_fma_f64 v[68:69], v[137:138], s[4:5], -v[124:125]
	v_fma_f64 v[122:123], v[137:138], s[4:5], v[124:125]
	v_fma_f64 v[124:125], v[137:138], s[16:17], -v[120:121]
	v_fma_f64 v[120:121], v[137:138], s[16:17], v[120:121]
	;; [unrolled: 2-line block ×4, first 2 shown]
	v_add_f64 v[16:17], v[68:69], v[16:17]
	v_add_f64 v[18:19], v[122:123], v[18:19]
	;; [unrolled: 1-line block ×8, first 2 shown]
	v_mov_b32_e32 v6, 3
	v_mad_u32_u24 v7, v114, s33, 0
	v_lshlrev_b32_sdwa v68, v6, v115 dst_sel:DWORD dst_unused:UNUSED_PAD src0_sel:DWORD src1_sel:BYTE_0
	v_add3_u32 v92, v7, v68, v134
	ds_write2_b64 v92, v[128:129], v[8:9] offset1:6
	ds_write2_b64 v92, v[16:17], v[26:27] offset0:12 offset1:18
	ds_write2_b64 v92, v[60:61], v[14:15] offset0:24 offset1:30
	;; [unrolled: 1-line block ×4, first 2 shown]
	ds_write_b64 v92, v[10:11] offset:480
	s_and_saveexec_b64 s[38:39], s[0:1]
	s_cbranch_execz .LBB0_18
; %bb.17:
	v_add_f64 v[7:8], v[74:75], -v[54:55]
	v_add_f64 v[19:20], v[70:71], -v[56:57]
	v_add_f64 v[26:27], v[72:73], v[58:59]
	v_add_f64 v[17:18], v[48:49], -v[50:51]
	v_add_f64 v[68:69], v[64:65], v[66:67]
	;; [unrolled: 2-line block ×3, first 2 shown]
	v_add_f64 v[11:12], v[32:33], -v[34:35]
	v_mul_f64 v[28:29], v[7:8], s[24:25]
	v_mul_f64 v[114:115], v[7:8], s[18:19]
	;; [unrolled: 1-line block ×5, first 2 shown]
	v_add_f64 v[13:14], v[42:43], v[46:47]
	v_mul_f64 v[122:123], v[15:16], s[30:31]
	v_mul_f64 v[141:142], v[17:18], s[20:21]
	v_fma_f64 v[128:129], v[26:27], s[22:23], v[28:29]
	v_fma_f64 v[28:29], v[26:27], s[22:23], -v[28:29]
	v_fma_f64 v[137:138], v[26:27], s[16:17], v[114:115]
	v_fma_f64 v[143:144], v[68:69], s[4:5], v[124:125]
	v_fma_f64 v[124:125], v[68:69], s[4:5], -v[124:125]
	v_fma_f64 v[145:146], v[68:69], s[10:11], v[135:136]
	v_fma_f64 v[151:152], v[60:61], s[16:17], v[126:127]
	v_fma_f64 v[126:127], v[60:61], s[16:17], -v[126:127]
	v_add_f64 v[128:129], v[4:5], v[128:129]
	v_add_f64 v[28:29], v[4:5], v[28:29]
	;; [unrolled: 1-line block ×4, first 2 shown]
	v_mul_f64 v[120:121], v[11:12], s[14:15]
	v_mul_f64 v[147:148], v[15:16], s[24:25]
	v_fma_f64 v[153:154], v[13:14], s[6:7], v[122:123]
	v_fma_f64 v[122:123], v[13:14], s[6:7], -v[122:123]
	v_add_f64 v[128:129], v[143:144], v[128:129]
	v_add_f64 v[28:29], v[124:125], v[28:29]
	v_fma_f64 v[124:125], v[60:61], s[4:5], v[141:142]
	v_add_f64 v[137:138], v[145:146], v[137:138]
	v_mul_f64 v[145:146], v[7:8], s[14:15]
	v_mul_f64 v[139:140], v[11:12], s[30:31]
	;; [unrolled: 1-line block ×3, first 2 shown]
	v_fma_f64 v[114:115], v[26:27], s[16:17], -v[114:115]
	v_add_f64 v[128:129], v[151:152], v[128:129]
	v_add_f64 v[28:29], v[126:127], v[28:29]
	v_fma_f64 v[126:127], v[13:14], s[22:23], v[147:148]
	v_add_f64 v[124:125], v[124:125], v[137:138]
	v_fma_f64 v[137:138], v[9:10], s[10:11], v[120:121]
	v_fma_f64 v[120:121], v[9:10], s[10:11], -v[120:121]
	v_fma_f64 v[151:152], v[26:27], s[10:11], v[145:146]
	v_mul_f64 v[149:150], v[17:18], s[30:31]
	v_add_f64 v[128:129], v[153:154], v[128:129]
	v_add_f64 v[28:29], v[122:123], v[28:29]
	v_fma_f64 v[122:123], v[9:10], s[6:7], v[139:140]
	v_add_f64 v[124:125], v[126:127], v[124:125]
	v_fma_f64 v[126:127], v[68:69], s[10:11], -v[135:136]
	v_add_f64 v[114:115], v[4:5], v[114:115]
	v_fma_f64 v[135:136], v[68:69], s[22:23], v[143:144]
	v_add_f64 v[151:152], v[4:5], v[151:152]
	v_add_f64 v[128:129], v[137:138], v[128:129]
	;; [unrolled: 1-line block ×3, first 2 shown]
	v_fma_f64 v[120:121], v[26:27], s[10:11], -v[145:146]
	v_add_f64 v[122:123], v[122:123], v[124:125]
	v_fma_f64 v[124:125], v[60:61], s[4:5], -v[141:142]
	v_add_f64 v[114:115], v[126:127], v[114:115]
	v_fma_f64 v[137:138], v[60:61], s[6:7], v[149:150]
	v_add_f64 v[135:136], v[135:136], v[151:152]
	v_fma_f64 v[141:142], v[68:69], s[22:23], -v[143:144]
	v_add_f64 v[145:146], v[4:5], v[72:73]
	v_add_f64 v[120:121], v[4:5], v[120:121]
	v_mul_f64 v[126:127], v[15:16], s[20:21]
	v_fma_f64 v[143:144], v[13:14], s[22:23], -v[147:148]
	v_add_f64 v[114:115], v[124:125], v[114:115]
	v_mul_f64 v[153:154], v[17:18], s[36:37]
	v_add_f64 v[135:136], v[137:138], v[135:136]
	v_fma_f64 v[137:138], v[60:61], s[6:7], -v[149:150]
	v_mul_f64 v[17:18], v[17:18], s[14:15]
	v_add_f64 v[120:121], v[141:142], v[120:121]
	v_add_f64 v[141:142], v[145:146], v[64:65]
	v_fma_f64 v[147:148], v[13:14], s[4:5], v[126:127]
	v_add_f64 v[114:115], v[143:144], v[114:115]
	v_mul_f64 v[143:144], v[7:8], s[26:27]
	v_fma_f64 v[126:127], v[13:14], s[4:5], -v[126:127]
	v_mul_f64 v[7:8], v[7:8], s[20:21]
	v_mul_f64 v[151:152], v[15:16], s[34:35]
	v_add_f64 v[120:121], v[137:138], v[120:121]
	v_add_f64 v[137:138], v[141:142], v[62:63]
	;; [unrolled: 1-line block ×3, first 2 shown]
	v_mul_f64 v[141:142], v[19:20], s[18:19]
	v_fma_f64 v[147:148], v[26:27], s[6:7], v[143:144]
	v_mul_f64 v[19:20], v[19:20], s[26:27]
	v_fma_f64 v[161:162], v[26:27], s[4:5], -v[7:8]
	v_fma_f64 v[143:144], v[26:27], s[6:7], -v[143:144]
	v_add_f64 v[120:121], v[126:127], v[120:121]
	v_add_f64 v[126:127], v[137:138], v[42:43]
	v_fma_f64 v[7:8], v[26:27], s[4:5], v[7:8]
	v_fma_f64 v[137:138], v[68:69], s[16:17], v[141:142]
	v_add_f64 v[147:148], v[4:5], v[147:148]
	v_fma_f64 v[26:27], v[68:69], s[6:7], -v[19:20]
	v_fma_f64 v[141:142], v[68:69], s[16:17], -v[141:142]
	v_add_f64 v[143:144], v[4:5], v[143:144]
	v_fma_f64 v[19:20], v[68:69], s[6:7], v[19:20]
	v_add_f64 v[126:127], v[126:127], v[36:37]
	v_fma_f64 v[159:160], v[60:61], s[22:23], v[153:154]
	v_fma_f64 v[153:154], v[60:61], s[22:23], -v[153:154]
	v_add_f64 v[137:138], v[137:138], v[147:148]
	v_add_f64 v[147:148], v[4:5], v[161:162]
	;; [unrolled: 1-line block ×3, first 2 shown]
	v_mul_f64 v[7:8], v[15:16], s[18:19]
	v_fma_f64 v[15:16], v[60:61], s[10:11], -v[17:18]
	v_add_f64 v[126:127], v[126:127], v[38:39]
	v_fma_f64 v[17:18], v[60:61], s[10:11], v[17:18]
	v_mul_f64 v[124:125], v[11:12], s[18:19]
	v_mul_f64 v[149:150], v[11:12], s[28:29]
	v_add_f64 v[26:27], v[26:27], v[147:148]
	v_add_f64 v[4:5], v[19:20], v[4:5]
	v_mul_f64 v[11:12], v[11:12], s[24:25]
	v_fma_f64 v[19:20], v[13:14], s[16:17], -v[7:8]
	v_add_f64 v[68:69], v[126:127], v[46:47]
	v_add_f64 v[126:127], v[141:142], v[143:144]
	v_fma_f64 v[141:142], v[13:14], s[10:11], -v[151:152]
	v_fma_f64 v[157:158], v[13:14], s[10:11], v[151:152]
	v_add_f64 v[15:16], v[15:16], v[26:27]
	v_fma_f64 v[7:8], v[13:14], s[16:17], v[7:8]
	v_add_f64 v[4:5], v[17:18], v[4:5]
	v_fma_f64 v[17:18], v[9:10], s[22:23], -v[11:12]
	v_add_f64 v[26:27], v[68:69], v[52:53]
	v_add_f64 v[60:61], v[153:154], v[126:127]
	;; [unrolled: 1-line block ×3, first 2 shown]
	v_fma_f64 v[145:146], v[9:10], s[16:17], v[124:125]
	v_add_f64 v[15:16], v[19:20], v[15:16]
	v_fma_f64 v[124:125], v[9:10], s[16:17], -v[124:125]
	v_fma_f64 v[13:14], v[9:10], s[4:5], -v[149:150]
	;; [unrolled: 1-line block ×3, first 2 shown]
	v_add_f64 v[19:20], v[26:27], v[66:67]
	v_add_f64 v[26:27], v[141:142], v[60:61]
	v_fma_f64 v[155:156], v[9:10], s[4:5], v[149:150]
	v_add_f64 v[60:61], v[157:158], v[68:69]
	v_fma_f64 v[9:10], v[9:10], s[22:23], v[11:12]
	v_add_f64 v[4:5], v[7:8], v[4:5]
	v_add_f64 v[15:16], v[17:18], v[15:16]
	v_add_f64 v[11:12], v[124:125], v[120:121]
	v_add_f64 v[17:18], v[19:20], v[58:59]
	v_add_f64 v[13:14], v[13:14], v[26:27]
	v_add_f64 v[7:8], v[139:140], v[114:115]
	v_add_f64 v[19:20], v[145:146], v[135:136]
	v_add_f64 v[26:27], v[155:156], v[60:61]
	v_add_f64 v[4:5], v[9:10], v[4:5]
	v_mad_u32_u24 v9, v112, s33, 0
	v_lshlrev_b32_sdwa v6, v6, v113 dst_sel:DWORD dst_unused:UNUSED_PAD src0_sel:DWORD src1_sel:BYTE_0
	v_add3_u32 v6, v9, v6, v134
	ds_write2_b64 v6, v[17:18], v[15:16] offset1:6
	ds_write2_b64 v6, v[13:14], v[11:12] offset0:12 offset1:18
	ds_write2_b64 v6, v[7:8], v[28:29] offset0:24 offset1:30
	;; [unrolled: 1-line block ×4, first 2 shown]
	ds_write_b64 v6, v[4:5] offset:480
.LBB0_18:
	s_or_b64 exec, exec, s[38:39]
	v_add_f64 v[4:5], v[0:1], v[110:111]
	v_add_f64 v[6:7], v[108:109], -v[24:25]
	v_add_f64 v[8:9], v[110:111], v[22:23]
	v_add_f64 v[12:13], v[104:105], -v[106:107]
	;; [unrolled: 2-line block ×3, first 2 shown]
	v_add_f64 v[14:15], v[96:97], v[94:95]
	s_waitcnt lgkmcnt(0)
	v_add_f64 v[4:5], v[4:5], v[98:99]
	v_mul_f64 v[18:19], v[6:7], s[20:21]
	v_mul_f64 v[20:21], v[6:7], s[26:27]
	;; [unrolled: 1-line block ×7, first 2 shown]
	v_add_f64 v[4:5], v[4:5], v[96:97]
	v_fma_f64 v[104:105], v[8:9], s[4:5], v[18:19]
	v_fma_f64 v[18:19], v[8:9], s[4:5], -v[18:19]
	v_mul_f64 v[68:69], v[12:13], s[36:37]
	v_mul_f64 v[96:97], v[12:13], s[34:35]
	;; [unrolled: 1-line block ×4, first 2 shown]
	v_fma_f64 v[106:107], v[8:9], s[6:7], v[20:21]
	v_add_f64 v[4:5], v[4:5], v[84:85]
	v_fma_f64 v[20:21], v[8:9], s[6:7], -v[20:21]
	v_fma_f64 v[108:109], v[8:9], s[10:11], v[24:25]
	v_fma_f64 v[24:25], v[8:9], s[10:11], -v[24:25]
	v_fma_f64 v[110:111], v[8:9], s[16:17], v[26:27]
	;; [unrolled: 2-line block ×3, first 2 shown]
	v_fma_f64 v[6:7], v[8:9], s[22:23], -v[6:7]
	v_add_f64 v[4:5], v[4:5], v[78:79]
	v_fma_f64 v[8:9], v[10:11], s[6:7], v[28:29]
	v_fma_f64 v[28:29], v[10:11], s[6:7], -v[28:29]
	v_add_f64 v[104:105], v[0:1], v[104:105]
	v_add_f64 v[18:19], v[0:1], v[18:19]
	v_fma_f64 v[120:121], v[10:11], s[16:17], v[60:61]
	v_fma_f64 v[60:61], v[10:11], s[16:17], -v[60:61]
	v_fma_f64 v[122:123], v[10:11], s[22:23], v[68:69]
	v_add_f64 v[4:5], v[4:5], v[76:77]
	v_fma_f64 v[68:69], v[10:11], s[22:23], -v[68:69]
	v_fma_f64 v[124:125], v[10:11], s[10:11], v[96:97]
	v_fma_f64 v[96:97], v[10:11], s[10:11], -v[96:97]
	v_fma_f64 v[126:127], v[10:11], s[4:5], v[12:13]
	;; [unrolled: 2-line block ×3, first 2 shown]
	v_fma_f64 v[98:99], v[14:15], s[10:11], -v[98:99]
	v_add_f64 v[4:5], v[4:5], v[30:31]
	v_add_f64 v[106:107], v[0:1], v[106:107]
	;; [unrolled: 1-line block ×6, first 2 shown]
	v_mul_f64 v[102:103], v[16:17], s[30:31]
	v_mul_f64 v[100:101], v[16:17], s[36:37]
	v_add_f64 v[4:5], v[4:5], v[94:95]
	v_add_f64 v[93:94], v[0:1], v[110:111]
	;; [unrolled: 1-line block ×9, first 2 shown]
	v_fma_f64 v[128:129], v[14:15], s[22:23], v[100:101]
	v_fma_f64 v[100:101], v[14:15], s[22:23], -v[100:101]
	v_add_f64 v[0:1], v[10:11], v[0:1]
	v_mul_f64 v[10:11], v[16:17], s[20:21]
	v_mul_f64 v[16:17], v[16:17], s[18:19]
	v_add_f64 v[18:19], v[120:121], v[106:107]
	v_add_f64 v[20:21], v[60:61], v[20:21]
	;; [unrolled: 1-line block ×5, first 2 shown]
	v_add_f64 v[8:9], v[86:87], -v[88:89]
	v_fma_f64 v[12:13], v[14:15], s[6:7], v[102:103]
	v_add_f64 v[24:25], v[68:69], v[24:25]
	v_add_f64 v[60:61], v[124:125], v[93:94]
	;; [unrolled: 1-line block ×3, first 2 shown]
	v_fma_f64 v[22:23], v[14:15], s[6:7], -v[102:103]
	v_fma_f64 v[86:87], v[14:15], s[4:5], v[10:11]
	v_fma_f64 v[10:11], v[14:15], s[4:5], -v[10:11]
	v_mul_f64 v[84:85], v[8:9], s[18:19]
	v_add_f64 v[12:13], v[12:13], v[28:29]
	v_mul_f64 v[28:29], v[8:9], s[34:35]
	v_fma_f64 v[88:89], v[14:15], s[16:17], v[16:17]
	v_fma_f64 v[14:15], v[14:15], s[16:17], -v[16:17]
	v_add_f64 v[18:19], v[128:129], v[18:19]
	v_add_f64 v[22:23], v[22:23], v[24:25]
	v_add_f64 v[24:25], v[86:87], v[60:61]
	v_fma_f64 v[16:17], v[30:31], s[16:17], v[84:85]
	v_fma_f64 v[60:61], v[30:31], s[16:17], -v[84:85]
	v_add_f64 v[10:11], v[10:11], v[26:27]
	v_fma_f64 v[26:27], v[30:31], s[10:11], v[28:29]
	v_mul_f64 v[84:85], v[8:9], s[20:21]
	v_add_f64 v[76:77], v[78:79], v[76:77]
	v_add_f64 v[0:1], v[14:15], v[0:1]
	v_mul_f64 v[14:15], v[8:9], s[24:25]
	v_add_f64 v[4:5], v[16:17], v[4:5]
	v_add_f64 v[16:17], v[80:81], -v[82:83]
	v_add_f64 v[20:21], v[100:101], v[20:21]
	v_add_f64 v[18:19], v[26:27], v[18:19]
	v_fma_f64 v[26:27], v[30:31], s[10:11], -v[28:29]
	v_fma_f64 v[28:29], v[30:31], s[4:5], v[84:85]
	v_mul_f64 v[8:9], v[8:9], s[30:31]
	v_add_f64 v[68:69], v[126:127], v[110:111]
	v_add_f64 v[6:7], v[60:61], v[6:7]
	v_mul_f64 v[78:79], v[16:17], s[24:25]
	v_fma_f64 v[60:61], v[30:31], s[4:5], -v[84:85]
	v_fma_f64 v[80:81], v[30:31], s[22:23], v[14:15]
	v_fma_f64 v[14:15], v[30:31], s[22:23], -v[14:15]
	v_add_f64 v[12:13], v[28:29], v[12:13]
	v_add_f64 v[20:21], v[26:27], v[20:21]
	v_fma_f64 v[26:27], v[30:31], s[6:7], v[8:9]
	v_fma_f64 v[8:9], v[30:31], s[6:7], -v[8:9]
	v_fma_f64 v[28:29], v[76:77], s[22:23], v[78:79]
	v_add_f64 v[68:69], v[88:89], v[68:69]
	v_add_f64 v[22:23], v[60:61], v[22:23]
	v_mul_f64 v[60:61], v[16:17], s[18:19]
	v_add_f64 v[10:11], v[14:15], v[10:11]
	v_fma_f64 v[14:15], v[76:77], s[22:23], -v[78:79]
	v_mul_f64 v[30:31], v[16:17], s[28:29]
	v_add_f64 v[0:1], v[8:9], v[0:1]
	v_add_f64 v[87:88], v[28:29], v[4:5]
	v_mul_f64 v[4:5], v[16:17], s[14:15]
	v_mul_f64 v[8:9], v[16:17], s[30:31]
	v_fma_f64 v[16:17], v[76:77], s[16:17], v[60:61]
	v_fma_f64 v[28:29], v[76:77], s[16:17], -v[60:61]
	v_add_f64 v[93:94], v[14:15], v[6:7]
	v_fma_f64 v[6:7], v[76:77], s[4:5], v[30:31]
	v_add_f64 v[24:25], v[80:81], v[24:25]
	v_add_f64 v[26:27], v[26:27], v[68:69]
	v_fma_f64 v[60:61], v[76:77], s[10:11], v[4:5]
	v_fma_f64 v[4:5], v[76:77], s[10:11], -v[4:5]
	v_fma_f64 v[14:15], v[76:77], s[4:5], -v[30:31]
	v_fma_f64 v[30:31], v[76:77], s[6:7], v[8:9]
	v_fma_f64 v[8:9], v[76:77], s[6:7], -v[8:9]
	v_add_f64 v[95:96], v[6:7], v[18:19]
	v_add_f64 v[99:100], v[16:17], v[12:13]
	v_add_u32_e32 v80, 0x1000, v131
	v_add_u32_e32 v83, 0x1400, v131
	v_add_f64 v[109:110], v[4:5], v[0:1]
	v_lshlrev_b32_e32 v0, 3, v130
	v_add3_u32 v79, 0, v0, v134
	v_add_u32_e32 v82, 0x400, v131
	v_add_u32_e32 v84, 0x1800, v131
	;; [unrolled: 1-line block ×5, first 2 shown]
	v_add_f64 v[97:98], v[14:15], v[20:21]
	v_add_f64 v[101:102], v[28:29], v[22:23]
	;; [unrolled: 1-line block ×5, first 2 shown]
	s_barrier
	ds_read_b64 v[60:61], v133
	ds_read_b64 v[0:1], v79
	ds_read2_b64 v[20:23], v80 offset0:82 offset1:148
	v_add3_u32 v78, 0, v117, v134
	ds_read2_b64 v[24:27], v83 offset0:86 offset1:152
	ds_read2_b64 v[12:15], v82 offset0:70 offset1:136
	;; [unrolled: 1-line block ×6, first 2 shown]
	ds_read_b64 v[68:69], v78
	ds_read_b64 v[76:77], v131 offset:8976
	s_waitcnt lgkmcnt(0)
	s_barrier
	ds_write2_b64 v92, v[90:91], v[87:88] offset1:6
	ds_write2_b64 v92, v[95:96], v[99:100] offset0:12 offset1:18
	ds_write2_b64 v92, v[103:104], v[107:108] offset0:24 offset1:30
	;; [unrolled: 1-line block ×4, first 2 shown]
	ds_write_b64 v92, v[93:94] offset:480
	s_and_saveexec_b64 s[4:5], s[0:1]
	s_cbranch_execz .LBB0_20
; %bb.19:
	v_add_f64 v[87:88], v[2:3], v[74:75]
	v_add_f64 v[58:59], v[72:73], -v[58:59]
	v_add_f64 v[64:65], v[64:65], -v[66:67]
	s_mov_b32 s16, 0x43842ef
	s_mov_b32 s11, 0xbfed1bb4
	;; [unrolled: 1-line block ×4, first 2 shown]
	v_add_f64 v[74:75], v[74:75], v[54:55]
	v_add_f64 v[72:73], v[87:88], v[70:71]
	v_mul_f64 v[87:88], v[58:59], s[10:11]
	v_mul_f64 v[89:90], v[58:59], s[16:17]
	s_mov_b32 s22, 0xbb3a28a1
	s_mov_b32 s0, 0x8764f0ba
	;; [unrolled: 1-line block ×5, first 2 shown]
	v_add_f64 v[72:73], v[72:73], v[48:49]
	s_mov_b32 s1, 0x3feaeb8c
	s_mov_b32 s15, 0xbfc2375f
	;; [unrolled: 1-line block ×5, first 2 shown]
	v_mul_f64 v[91:92], v[58:59], s[22:23]
	v_add_f64 v[70:71], v[70:71], v[56:57]
	v_add_f64 v[72:73], v[72:73], v[40:41]
	v_mul_f64 v[93:94], v[64:65], s[10:11]
	v_mul_f64 v[95:96], v[64:65], s[22:23]
	;; [unrolled: 1-line block ×3, first 2 shown]
	v_fma_f64 v[103:104], v[74:75], s[6:7], v[87:88]
	v_fma_f64 v[87:88], v[74:75], s[6:7], -v[87:88]
	v_fma_f64 v[105:106], v[74:75], s[14:15], v[89:90]
	v_fma_f64 v[89:90], v[74:75], s[14:15], -v[89:90]
	v_add_f64 v[66:67], v[72:73], v[32:33]
	v_mul_f64 v[72:73], v[58:59], s[20:21]
	v_mul_f64 v[58:59], v[58:59], s[26:27]
	s_mov_b32 s18, 0x7f775887
	s_mov_b32 s19, 0xbfe4f49e
	;; [unrolled: 1-line block ×5, first 2 shown]
	v_add_f64 v[66:67], v[66:67], v[34:35]
	v_fma_f64 v[101:102], v[74:75], s[0:1], v[72:73]
	v_fma_f64 v[72:73], v[74:75], s[0:1], -v[72:73]
	s_mov_b32 s25, 0xbfeeb42a
	v_mul_f64 v[99:100], v[64:65], s[30:31]
	v_fma_f64 v[107:108], v[74:75], s[18:19], v[91:92]
	s_mov_b32 s28, s20
	v_fma_f64 v[91:92], v[74:75], s[18:19], -v[91:92]
	v_add_f64 v[66:67], v[66:67], v[44:45]
	v_fma_f64 v[109:110], v[74:75], s[24:25], v[58:59]
	v_fma_f64 v[58:59], v[74:75], s[24:25], -v[58:59]
	v_fma_f64 v[74:75], v[70:71], s[6:7], v[93:94]
	v_fma_f64 v[93:94], v[70:71], s[6:7], -v[93:94]
	v_add_f64 v[72:73], v[2:3], v[72:73]
	v_add_f64 v[87:88], v[2:3], v[87:88]
	;; [unrolled: 1-line block ×4, first 2 shown]
	v_add_f64 v[52:53], v[62:63], -v[52:53]
	v_mul_f64 v[62:63], v[64:65], s[28:29]
	v_fma_f64 v[64:65], v[70:71], s[24:25], -v[97:98]
	v_fma_f64 v[114:115], v[70:71], s[18:19], v[95:96]
	v_add_f64 v[101:102], v[2:3], v[101:102]
	v_add_f64 v[103:104], v[2:3], v[103:104]
	;; [unrolled: 1-line block ×7, first 2 shown]
	v_fma_f64 v[93:94], v[70:71], s[24:25], v[97:98]
	v_add_f64 v[48:49], v[48:49], v[50:51]
	v_mul_f64 v[50:51], v[52:53], s[16:17]
	v_fma_f64 v[97:98], v[70:71], s[0:1], v[62:63]
	v_add_f64 v[54:55], v[56:57], v[54:55]
	v_fma_f64 v[56:57], v[70:71], s[18:19], -v[95:96]
	v_fma_f64 v[95:96], v[70:71], s[14:15], v[99:100]
	v_add_f64 v[64:65], v[64:65], v[89:90]
	v_mul_f64 v[89:90], v[52:53], s[34:35]
	s_mov_b32 s11, 0x3fed1bb4
	v_add_f64 v[105:106], v[2:3], v[105:106]
	v_add_f64 v[2:3], v[2:3], v[58:59]
	v_fma_f64 v[62:63], v[70:71], s[0:1], -v[62:63]
	v_add_f64 v[56:57], v[56:57], v[87:88]
	v_fma_f64 v[87:88], v[70:71], s[14:15], -v[99:100]
	v_add_f64 v[66:67], v[95:96], v[66:67]
	v_mul_f64 v[95:96], v[52:53], s[10:11]
	v_add_f64 v[42:43], v[42:43], -v[46:47]
	v_add_f64 v[58:59], v[74:75], v[101:102]
	v_add_f64 v[74:75], v[114:115], v[103:104]
	v_fma_f64 v[70:71], v[48:49], s[14:15], v[50:51]
	v_mul_f64 v[46:47], v[52:53], s[20:21]
	v_add_f64 v[87:88], v[87:88], v[91:92]
	v_add_f64 v[91:92], v[97:98], v[107:108]
	v_fma_f64 v[97:98], v[48:49], s[24:25], v[89:90]
	v_add_f64 v[93:94], v[93:94], v[105:106]
	v_fma_f64 v[50:51], v[48:49], s[14:15], -v[50:51]
	v_fma_f64 v[89:90], v[48:49], s[24:25], -v[89:90]
	v_add_f64 v[2:3], v[62:63], v[2:3]
	v_fma_f64 v[62:63], v[48:49], s[6:7], v[95:96]
	v_mul_f64 v[52:53], v[52:53], s[22:23]
	v_add_f64 v[40:41], v[40:41], v[44:45]
	v_mul_f64 v[44:45], v[42:43], s[22:23]
	v_add_f64 v[58:59], v[70:71], v[58:59]
	v_add_f64 v[70:71], v[97:98], v[74:75]
	v_fma_f64 v[74:75], v[48:49], s[0:1], v[46:47]
	v_fma_f64 v[46:47], v[48:49], s[0:1], -v[46:47]
	v_add_f64 v[50:51], v[50:51], v[72:73]
	v_add_f64 v[56:57], v[89:90], v[56:57]
	v_fma_f64 v[72:73], v[48:49], s[6:7], -v[95:96]
	v_add_f64 v[62:63], v[62:63], v[93:94]
	v_mul_f64 v[89:90], v[42:43], s[30:31]
	v_fma_f64 v[93:94], v[48:49], s[18:19], v[52:53]
	v_fma_f64 v[48:49], v[48:49], s[18:19], -v[52:53]
	v_fma_f64 v[52:53], v[40:41], s[18:19], v[44:45]
	v_fma_f64 v[44:45], v[40:41], s[18:19], -v[44:45]
	v_add_f64 v[46:47], v[46:47], v[87:88]
	v_mul_f64 v[87:88], v[42:43], s[20:21]
	v_add_f64 v[64:65], v[72:73], v[64:65]
	v_fma_f64 v[72:73], v[40:41], s[14:15], v[89:90]
	v_add_f64 v[36:37], v[36:37], -v[38:39]
	v_add_f64 v[2:3], v[48:49], v[2:3]
	v_add_f64 v[48:49], v[52:53], v[58:59]
	v_mul_f64 v[52:53], v[42:43], s[26:27]
	v_add_f64 v[44:45], v[44:45], v[50:51]
	v_fma_f64 v[50:51], v[40:41], s[14:15], -v[89:90]
	v_fma_f64 v[58:59], v[40:41], s[0:1], v[87:88]
	v_mul_f64 v[42:43], v[42:43], s[10:11]
	v_add_f64 v[66:67], v[74:75], v[66:67]
	v_add_f64 v[38:39], v[72:73], v[70:71]
	v_fma_f64 v[70:71], v[40:41], s[0:1], -v[87:88]
	v_fma_f64 v[72:73], v[40:41], s[24:25], v[52:53]
	v_add_f64 v[32:33], v[32:33], v[34:35]
	v_mul_f64 v[34:35], v[36:37], s[26:27]
	v_fma_f64 v[52:53], v[40:41], s[24:25], -v[52:53]
	v_add_f64 v[50:51], v[50:51], v[56:57]
	v_add_f64 v[56:57], v[58:59], v[62:63]
	v_fma_f64 v[58:59], v[40:41], s[6:7], v[42:43]
	v_fma_f64 v[40:41], v[40:41], s[6:7], -v[42:43]
	v_add_f64 v[62:63], v[70:71], v[64:65]
	v_add_f64 v[42:43], v[72:73], v[66:67]
	v_fma_f64 v[64:65], v[32:33], s[24:25], v[34:35]
	v_add_f64 v[46:47], v[52:53], v[46:47]
	v_fma_f64 v[34:35], v[32:33], s[24:25], -v[34:35]
	v_mul_f64 v[52:53], v[36:37], s[28:29]
	v_mul_f64 v[66:67], v[36:37], s[22:23]
	v_add_f64 v[74:75], v[93:94], v[91:92]
	v_add_f64 v[2:3], v[40:41], v[2:3]
	v_mul_f64 v[40:41], v[36:37], s[10:11]
	v_mul_f64 v[36:37], v[36:37], s[16:17]
	v_add_f64 v[48:49], v[64:65], v[48:49]
	v_add_f64 v[34:35], v[34:35], v[44:45]
	v_fma_f64 v[44:45], v[32:33], s[0:1], v[52:53]
	v_fma_f64 v[64:65], v[32:33], s[18:19], v[66:67]
	v_add_f64 v[58:59], v[58:59], v[74:75]
	v_fma_f64 v[52:53], v[32:33], s[0:1], -v[52:53]
	v_fma_f64 v[70:71], v[32:33], s[6:7], v[40:41]
	v_fma_f64 v[40:41], v[32:33], s[6:7], -v[40:41]
	v_fma_f64 v[72:73], v[32:33], s[14:15], v[36:37]
	v_fma_f64 v[66:67], v[32:33], s[18:19], -v[66:67]
	v_fma_f64 v[32:33], v[32:33], s[14:15], -v[36:37]
	v_add_f64 v[36:37], v[44:45], v[38:39]
	v_add_f64 v[44:45], v[64:65], v[56:57]
	;; [unrolled: 1-line block ×8, first 2 shown]
	s_movk_i32 s0, 0x210
	v_mov_b32_e32 v33, 3
	v_mad_u32_u24 v32, v112, s0, 0
	v_lshlrev_b32_sdwa v33, v33, v113 dst_sel:DWORD dst_unused:UNUSED_PAD src0_sel:DWORD src1_sel:BYTE_0
	v_add3_u32 v32, v32, v33, v134
	ds_write2_b64 v32, v[54:55], v[48:49] offset1:6
	ds_write2_b64 v32, v[36:37], v[44:45] offset0:12 offset1:18
	ds_write2_b64 v32, v[42:43], v[46:47] offset0:24 offset1:30
	;; [unrolled: 1-line block ×4, first 2 shown]
	ds_write_b64 v32, v[34:35] offset:480
.LBB0_20:
	s_or_b64 exec, exec, s[4:5]
	v_mov_b32_e32 v117, 0
	v_lshlrev_b64 v[2:3], 4, v[116:117]
	v_mov_b32_e32 v115, s9
	v_add_co_u32_e64 v2, s[0:1], s8, v2
	v_addc_co_u32_e64 v3, s[0:1], v115, v3, s[0:1]
	s_movk_i32 s0, 0xf9
	v_mul_lo_u16_sdwa v32, v130, s0 dst_sel:DWORD dst_unused:UNUSED_PAD src0_sel:BYTE_0 src1_sel:DWORD
	v_lshrrev_b16_e32 v32, 14, v32
	v_mul_lo_u16_e32 v32, 0x42, v32
	v_add_u32_e32 v42, 0xc6, v116
	v_sub_u16_e32 v143, v130, v32
	v_mov_b32_e32 v32, 4
	s_mov_b32 s0, 0xf83f
	v_add_u32_e32 v41, 0x108, v116
	s_waitcnt lgkmcnt(0)
	s_barrier
	v_lshlrev_b32_sdwa v45, v32, v143 dst_sel:DWORD dst_unused:UNUSED_PAD src0_sel:DWORD src1_sel:BYTE_0
	global_load_dwordx4 v[32:35], v[2:3], off offset:960
	global_load_dwordx4 v[36:39], v45, s[8:9] offset:960
	v_mul_u32_u24_sdwa v2, v42, s0 dst_sel:DWORD dst_unused:UNUSED_PAD src0_sel:WORD_0 src1_sel:DWORD
	v_lshrrev_b32_e32 v2, 22, v2
	v_mul_u32_u24_sdwa v145, v41, s0 dst_sel:DWORD dst_unused:UNUSED_PAD src0_sel:WORD_0 src1_sel:DWORD
	v_mul_lo_u16_e32 v2, 0x42, v2
	v_lshrrev_b32_e32 v3, 22, v145
	v_add_u32_e32 v40, 0x14a, v116
	v_sub_u16_e32 v144, v42, v2
	v_mul_lo_u16_e32 v3, 0x42, v3
	v_lshlrev_b32_e32 v2, 4, v144
	v_sub_u16_e32 v146, v41, v3
	v_mul_u32_u24_sdwa v147, v40, s0 dst_sel:DWORD dst_unused:UNUSED_PAD src0_sel:WORD_0 src1_sel:DWORD
	v_lshlrev_b32_e32 v3, 4, v146
	global_load_dwordx4 v[45:48], v2, s[8:9] offset:960
	global_load_dwordx4 v[49:52], v3, s[8:9] offset:960
	v_lshrrev_b32_e32 v2, 22, v147
	v_mul_lo_u16_e32 v2, 0x42, v2
	v_sub_u16_e32 v148, v40, v2
	v_add_u32_e32 v44, 0x18c, v116
	v_lshlrev_b32_e32 v2, 4, v148
	global_load_dwordx4 v[53:56], v2, s[8:9] offset:960
	v_mul_u32_u24_sdwa v2, v44, s0 dst_sel:DWORD dst_unused:UNUSED_PAD src0_sel:WORD_0 src1_sel:DWORD
	v_lshrrev_b32_e32 v2, 22, v2
	v_mul_lo_u16_e32 v2, 0x42, v2
	v_sub_u16_e32 v149, v44, v2
	v_add_u32_e32 v43, 0x1ce, v116
	v_lshlrev_b32_e32 v2, 4, v149
	v_add_u32_e32 v57, 0x210, v116
	global_load_dwordx4 v[62:65], v2, s[8:9] offset:960
	v_mul_u32_u24_sdwa v2, v43, s0 dst_sel:DWORD dst_unused:UNUSED_PAD src0_sel:WORD_0 src1_sel:DWORD
	v_lshrrev_b32_e32 v2, 22, v2
	v_mul_u32_u24_sdwa v3, v57, s0 dst_sel:DWORD dst_unused:UNUSED_PAD src0_sel:WORD_0 src1_sel:DWORD
	v_mul_lo_u16_e32 v2, 0x42, v2
	v_lshrrev_b32_e32 v3, 22, v3
	v_sub_u16_e32 v150, v43, v2
	v_mul_lo_u16_e32 v3, 0x42, v3
	v_lshlrev_b32_e32 v2, 4, v150
	v_sub_u16_e32 v151, v57, v3
	global_load_dwordx4 v[70:73], v2, s[8:9] offset:960
	v_lshlrev_b32_e32 v2, 4, v151
	global_load_dwordx4 v[87:90], v2, s[8:9] offset:960
	ds_read_b64 v[2:3], v133
	ds_read2_b64 v[91:94], v80 offset0:82 offset1:148
	ds_read_b64 v[57:58], v79
	ds_read2_b64 v[95:98], v83 offset0:86 offset1:152
	ds_read2_b64 v[99:102], v82 offset0:70 offset1:136
	;; [unrolled: 1-line block ×6, first 2 shown]
	ds_read_b64 v[66:67], v78
	ds_read_b64 v[74:75], v131 offset:8976
	s_waitcnt vmcnt(0) lgkmcnt(0)
	s_barrier
	s_mov_b32 s5, 0xbfebb67a
	v_mul_f64 v[124:125], v[91:92], v[34:35]
	v_mul_f64 v[126:127], v[20:21], v[34:35]
	;; [unrolled: 1-line block ×6, first 2 shown]
	v_fma_f64 v[20:21], v[20:21], v[32:33], -v[124:125]
	v_fma_f64 v[91:92], v[91:92], v[32:33], v[126:127]
	v_fma_f64 v[22:23], v[22:23], v[32:33], -v[128:129]
	v_fma_f64 v[32:33], v[93:94], v[32:33], v[34:35]
	v_fma_f64 v[24:25], v[24:25], v[36:37], -v[135:136]
	v_mul_f64 v[137:138], v[97:98], v[47:48]
	v_mul_f64 v[47:48], v[26:27], v[47:48]
	;; [unrolled: 1-line block ×4, first 2 shown]
	v_fma_f64 v[34:35], v[95:96], v[36:37], v[38:39]
	v_add_f64 v[20:21], v[60:61], -v[20:21]
	v_add_f64 v[32:33], v[66:67], -v[32:33]
	v_mul_f64 v[141:142], v[105:106], v[55:56]
	v_mul_f64 v[55:56], v[30:31], v[55:56]
	v_fma_f64 v[26:27], v[26:27], v[45:46], -v[137:138]
	v_fma_f64 v[36:37], v[97:98], v[45:46], v[47:48]
	v_fma_f64 v[38:39], v[103:104], v[49:50], v[51:52]
	v_fma_f64 v[28:29], v[28:29], v[49:50], -v[139:140]
	v_fma_f64 v[30:31], v[30:31], v[53:54], -v[141:142]
	v_fma_f64 v[45:46], v[105:106], v[53:54], v[55:56]
	v_mul_f64 v[47:48], v[111:112], v[64:65]
	v_mul_f64 v[49:50], v[16:17], v[64:65]
	v_add_f64 v[26:27], v[12:13], -v[26:27]
	v_add_f64 v[28:29], v[14:15], -v[28:29]
	;; [unrolled: 1-line block ×4, first 2 shown]
	v_mul_f64 v[51:52], v[113:114], v[72:73]
	v_mul_f64 v[53:54], v[18:19], v[72:73]
	;; [unrolled: 1-line block ×3, first 2 shown]
	v_add_f64 v[72:73], v[2:3], -v[91:92]
	v_mul_f64 v[64:65], v[76:77], v[89:90]
	v_fma_f64 v[16:17], v[16:17], v[62:63], -v[47:48]
	v_fma_f64 v[47:48], v[111:112], v[62:63], v[49:50]
	v_fma_f64 v[4:5], v[4:5], 2.0, -v[30:31]
	v_fma_f64 v[18:19], v[18:19], v[70:71], -v[51:52]
	v_fma_f64 v[49:50], v[113:114], v[70:71], v[53:54]
	v_fma_f64 v[51:52], v[76:77], v[87:88], -v[55:56]
	v_fma_f64 v[55:56], v[60:61], 2.0, -v[20:21]
	v_fma_f64 v[59:60], v[2:3], 2.0, -v[72:73]
	v_add_f64 v[2:3], v[68:69], -v[22:23]
	v_add_f64 v[22:23], v[0:1], -v[24:25]
	;; [unrolled: 1-line block ×5, first 2 shown]
	v_fma_f64 v[53:54], v[74:75], v[87:88], v[64:65]
	v_add_f64 v[16:17], v[6:7], -v[16:17]
	v_add_f64 v[18:19], v[8:9], -v[18:19]
	v_fma_f64 v[38:39], v[68:69], 2.0, -v[2:3]
	v_fma_f64 v[0:1], v[0:1], 2.0, -v[22:23]
	ds_write2_b64 v131, v[55:56], v[20:21] offset1:66
	ds_write2_b64 v131, v[38:39], v[2:3] offset0:132 offset1:198
	v_mov_b32_e32 v2, 3
	v_add_f64 v[51:52], v[10:11], -v[51:52]
	v_lshlrev_b32_sdwa v2, v2, v143 dst_sel:DWORD dst_unused:UNUSED_PAD src0_sel:DWORD src1_sel:BYTE_0
	v_add3_u32 v2, 0, v2, v134
	v_add_u32_e32 v38, 0x800, v2
	ds_write2_b64 v38, v[0:1], v[22:23] offset0:8 offset1:74
	v_lshlrev_b32_e32 v0, 3, v144
	v_add3_u32 v0, 0, v0, v134
	v_add_u32_e32 v39, 0x800, v0
	v_lshlrev_b32_e32 v0, 3, v146
	v_add_f64 v[47:48], v[109:110], -v[47:48]
	v_add3_u32 v0, 0, v0, v134
	v_add_f64 v[49:50], v[120:121], -v[49:50]
	v_add_u32_e32 v55, 0x1000, v0
	v_lshlrev_b32_e32 v0, 3, v148
	v_fma_f64 v[12:13], v[12:13], 2.0, -v[26:27]
	v_fma_f64 v[14:15], v[14:15], 2.0, -v[28:29]
	v_add_f64 v[53:54], v[122:123], -v[53:54]
	v_fma_f64 v[6:7], v[6:7], 2.0, -v[16:17]
	v_fma_f64 v[8:9], v[8:9], 2.0, -v[18:19]
	;; [unrolled: 1-line block ×3, first 2 shown]
	v_add3_u32 v0, 0, v0, v134
	v_fma_f64 v[61:62], v[66:67], 2.0, -v[32:33]
	v_add_u32_e32 v56, 0x1000, v0
	v_lshlrev_b32_e32 v0, 3, v149
	v_fma_f64 v[57:58], v[57:58], 2.0, -v[24:25]
	v_add3_u32 v0, 0, v0, v134
	v_fma_f64 v[63:64], v[99:100], 2.0, -v[34:35]
	ds_write2_b64 v56, v[4:5], v[30:31] offset0:148 offset1:214
	v_add_u32_e32 v30, 0x1800, v0
	v_lshlrev_b32_e32 v0, 3, v150
	v_fma_f64 v[65:66], v[101:102], 2.0, -v[36:37]
	v_add3_u32 v0, 0, v0, v134
	v_fma_f64 v[67:68], v[107:108], 2.0, -v[45:46]
	v_add_u32_e32 v31, 0x1800, v0
	v_lshlrev_b32_e32 v0, 3, v151
	v_fma_f64 v[69:70], v[109:110], 2.0, -v[47:48]
	v_add3_u32 v0, 0, v0, v134
	v_fma_f64 v[74:75], v[120:121], 2.0, -v[49:50]
	v_add_u32_e32 v71, 0x2000, v0
	v_fma_f64 v[76:77], v[122:123], 2.0, -v[53:54]
	ds_write2_b64 v39, v[12:13], v[26:27] offset0:140 offset1:206
	ds_write2_b64 v55, v[14:15], v[28:29] offset0:16 offset1:82
	;; [unrolled: 1-line block ×5, first 2 shown]
	s_waitcnt lgkmcnt(0)
	s_barrier
	ds_read_b64 v[107:108], v133
	ds_read2_b64 v[0:3], v86 offset0:74 offset1:140
	ds_read2_b64 v[4:7], v83 offset0:86 offset1:152
	;; [unrolled: 1-line block ×4, first 2 shown]
	ds_read_b64 v[109:110], v79
	ds_read2_b64 v[16:19], v82 offset0:70 offset1:136
	ds_read2_b64 v[20:23], v80 offset0:82 offset1:148
	;; [unrolled: 1-line block ×3, first 2 shown]
	ds_read_b64 v[111:112], v78
	ds_read_b64 v[113:114], v131 offset:8976
	s_waitcnt lgkmcnt(0)
	s_barrier
	ds_write2_b64 v131, v[59:60], v[72:73] offset1:66
	ds_write2_b64 v131, v[61:62], v[32:33] offset0:132 offset1:198
	ds_write2_b64 v38, v[57:58], v[24:25] offset0:8 offset1:74
	;; [unrolled: 1-line block ×8, first 2 shown]
	v_lshlrev_b32_e32 v24, 1, v116
	v_mov_b32_e32 v25, v117
	v_lshlrev_b64 v[24:25], 4, v[24:25]
	s_waitcnt lgkmcnt(0)
	v_add_co_u32_e64 v24, s[0:1], s8, v24
	v_addc_co_u32_e64 v25, s[0:1], v115, v25, s[0:1]
	s_barrier
	global_load_dwordx4 v[32:35], v[24:25], off offset:2016
	global_load_dwordx4 v[36:39], v[24:25], off offset:2032
	v_lshlrev_b32_e32 v30, 1, v132
	v_mov_b32_e32 v31, v117
	v_lshlrev_b64 v[30:31], 4, v[30:31]
	v_lshrrev_b32_e32 v53, 23, v145
	v_add_co_u32_e64 v30, s[0:1], s8, v30
	v_addc_co_u32_e64 v31, s[0:1], v115, v31, s[0:1]
	global_load_dwordx4 v[45:48], v[30:31], off offset:2016
	global_load_dwordx4 v[49:52], v[30:31], off offset:2032
	v_mul_lo_u16_e32 v53, 0x84, v53
	v_sub_u16_e32 v77, v41, v53
	v_lshlrev_b32_e32 v61, 5, v77
	global_load_dwordx4 v[53:56], v61, s[8:9] offset:2016
	global_load_dwordx4 v[57:60], v61, s[8:9] offset:2032
	v_lshrrev_b32_e32 v61, 23, v147
	v_mul_lo_u16_e32 v61, 0x84, v61
	v_sub_u16_e32 v115, v40, v61
	v_lshlrev_b32_e32 v69, 5, v115
	global_load_dwordx4 v[61:64], v69, s[8:9] offset:2016
	global_load_dwordx4 v[65:68], v69, s[8:9] offset:2032
	ds_read_b64 v[120:121], v133
	ds_read2_b64 v[69:72], v86 offset0:74 offset1:140
	ds_read2_b64 v[73:76], v83 offset0:86 offset1:152
	;; [unrolled: 1-line block ×4, first 2 shown]
	ds_read_b64 v[122:123], v79
	ds_read2_b64 v[95:98], v82 offset0:70 offset1:136
	ds_read2_b64 v[99:102], v80 offset0:82 offset1:148
	;; [unrolled: 1-line block ×3, first 2 shown]
	ds_read_b64 v[135:136], v78
	ds_read_b64 v[137:138], v131 offset:8976
	s_mov_b32 s0, 0xe8584caa
	s_mov_b32 s1, 0x3febb67a
	;; [unrolled: 1-line block ×3, first 2 shown]
	s_waitcnt vmcnt(0) lgkmcnt(0)
	s_barrier
	v_mul_f64 v[124:125], v[71:72], v[34:35]
	v_mul_f64 v[126:127], v[2:3], v[34:35]
	;; [unrolled: 1-line block ×5, first 2 shown]
	v_fma_f64 v[2:3], v[2:3], v[32:33], -v[124:125]
	v_mul_f64 v[124:125], v[6:7], v[38:39]
	v_fma_f64 v[71:72], v[71:72], v[32:33], v[126:127]
	v_mul_f64 v[126:127], v[87:88], v[47:48]
	v_mul_f64 v[139:140], v[8:9], v[47:48]
	v_fma_f64 v[10:11], v[10:11], v[32:33], -v[143:144]
	v_fma_f64 v[32:33], v[89:90], v[32:33], v[34:35]
	v_mul_f64 v[34:35], v[99:100], v[47:48]
	v_mul_f64 v[47:48], v[20:21], v[47:48]
	v_fma_f64 v[6:7], v[6:7], v[36:37], -v[128:129]
	v_mul_f64 v[128:129], v[91:92], v[51:52]
	v_mul_f64 v[141:142], v[12:13], v[51:52]
	v_fma_f64 v[75:76], v[75:76], v[36:37], v[124:125]
	v_fma_f64 v[8:9], v[8:9], v[45:46], -v[126:127]
	v_fma_f64 v[87:88], v[87:88], v[45:46], v[139:140]
	v_mul_f64 v[124:125], v[93:94], v[38:39]
	v_mul_f64 v[38:39], v[14:15], v[38:39]
	;; [unrolled: 1-line block ×4, first 2 shown]
	v_fma_f64 v[20:21], v[20:21], v[45:46], -v[34:35]
	v_fma_f64 v[34:35], v[99:100], v[45:46], v[47:48]
	v_mul_f64 v[45:46], v[105:106], v[59:60]
	v_fma_f64 v[12:13], v[12:13], v[49:50], -v[128:129]
	v_fma_f64 v[91:92], v[91:92], v[49:50], v[141:142]
	v_fma_f64 v[14:15], v[14:15], v[36:37], -v[124:125]
	v_mul_f64 v[124:125], v[101:102], v[55:56]
	v_fma_f64 v[36:37], v[93:94], v[36:37], v[38:39]
	v_mul_f64 v[38:39], v[22:23], v[55:56]
	v_fma_f64 v[26:27], v[26:27], v[49:50], -v[89:90]
	v_fma_f64 v[47:48], v[103:104], v[49:50], v[51:52]
	v_mul_f64 v[49:50], v[28:29], v[59:60]
	v_mul_f64 v[51:52], v[73:74], v[63:64]
	v_fma_f64 v[28:29], v[28:29], v[57:58], -v[45:46]
	v_mul_f64 v[45:46], v[4:5], v[63:64]
	v_fma_f64 v[22:23], v[22:23], v[53:54], -v[124:125]
	v_fma_f64 v[38:39], v[101:102], v[53:54], v[38:39]
	v_add_f64 v[53:54], v[2:3], v[6:7]
	v_mul_f64 v[55:56], v[137:138], v[67:68]
	v_mul_f64 v[59:60], v[113:114], v[67:68]
	v_fma_f64 v[4:5], v[4:5], v[61:62], -v[51:52]
	v_fma_f64 v[49:50], v[105:106], v[57:58], v[49:50]
	v_fma_f64 v[45:46], v[73:74], v[61:62], v[45:46]
	v_add_f64 v[61:62], v[71:72], v[75:76]
	v_add_f64 v[57:58], v[107:108], v[2:3]
	v_fma_f64 v[51:52], v[53:54], -0.5, v[107:108]
	v_add_f64 v[53:54], v[71:72], -v[75:76]
	v_fma_f64 v[55:56], v[113:114], v[65:66], -v[55:56]
	v_fma_f64 v[59:60], v[137:138], v[65:66], v[59:60]
	v_add_f64 v[65:66], v[120:121], v[71:72]
	v_add_f64 v[67:68], v[8:9], v[12:13]
	v_fma_f64 v[61:62], v[61:62], -0.5, v[120:121]
	v_add_f64 v[2:3], v[2:3], -v[6:7]
	v_add_f64 v[57:58], v[57:58], v[6:7]
	v_fma_f64 v[63:64], v[53:54], s[0:1], v[51:52]
	v_fma_f64 v[6:7], v[53:54], s[4:5], v[51:52]
	v_add_f64 v[51:52], v[111:112], v[8:9]
	v_add_f64 v[53:54], v[65:66], v[75:76]
	v_add_f64 v[65:66], v[87:88], v[91:92]
	v_fma_f64 v[67:68], v[67:68], -0.5, v[111:112]
	v_add_f64 v[71:72], v[87:88], -v[91:92]
	v_fma_f64 v[73:74], v[2:3], s[4:5], v[61:62]
	v_fma_f64 v[61:62], v[2:3], s[0:1], v[61:62]
	v_add_f64 v[2:3], v[135:136], v[87:88]
	v_add_f64 v[75:76], v[10:11], v[14:15]
	v_add_f64 v[51:52], v[51:52], v[12:13]
	v_fma_f64 v[65:66], v[65:66], -0.5, v[135:136]
	v_add_f64 v[8:9], v[8:9], -v[12:13]
	;; [unrolled: 7-line block ×3, first 2 shown]
	v_add_f64 v[32:33], v[122:123], v[32:33]
	v_fma_f64 v[91:92], v[8:9], s[4:5], v[65:66]
	v_fma_f64 v[65:66], v[8:9], s[0:1], v[65:66]
	v_add_f64 v[8:9], v[71:72], v[14:15]
	v_add_f64 v[71:72], v[20:21], v[26:27]
	v_fma_f64 v[2:3], v[2:3], -0.5, v[122:123]
	v_add_f64 v[10:11], v[10:11], -v[14:15]
	v_fma_f64 v[14:15], v[89:90], s[0:1], v[75:76]
	v_fma_f64 v[75:76], v[89:90], s[4:5], v[75:76]
	v_add_f64 v[89:90], v[32:33], v[36:37]
	v_add_f64 v[32:33], v[34:35], v[47:48]
	;; [unrolled: 1-line block ×4, first 2 shown]
	v_fma_f64 v[16:17], v[71:72], -0.5, v[16:17]
	v_add_f64 v[71:72], v[34:35], -v[47:48]
	v_fma_f64 v[93:94], v[10:11], s[4:5], v[2:3]
	v_fma_f64 v[101:102], v[10:11], s[0:1], v[2:3]
	v_add_f64 v[2:3], v[95:96], v[34:35]
	v_fma_f64 v[10:11], v[32:33], -0.5, v[95:96]
	v_add_f64 v[20:21], v[20:21], -v[26:27]
	v_add_f64 v[26:27], v[36:37], v[26:27]
	v_add_f64 v[34:35], v[18:19], v[22:23]
	v_fma_f64 v[18:19], v[99:100], -0.5, v[18:19]
	v_add_f64 v[36:37], v[38:39], -v[49:50]
	v_fma_f64 v[32:33], v[71:72], s[0:1], v[16:17]
	v_fma_f64 v[16:17], v[71:72], s[4:5], v[16:17]
	v_add_f64 v[47:48], v[2:3], v[47:48]
	v_fma_f64 v[71:72], v[20:21], s[4:5], v[10:11]
	v_add_f64 v[2:3], v[38:39], v[49:50]
	;; [unrolled: 2-line block ×3, first 2 shown]
	v_add_f64 v[10:11], v[34:35], v[28:29]
	v_fma_f64 v[34:35], v[36:37], s[0:1], v[18:19]
	v_fma_f64 v[18:19], v[36:37], s[4:5], v[18:19]
	v_add_f64 v[36:37], v[45:46], v[59:60]
	v_add_f64 v[22:23], v[22:23], -v[28:29]
	v_fma_f64 v[2:3], v[2:3], -0.5, v[97:98]
	v_add_f64 v[28:29], v[0:1], v[4:5]
	v_fma_f64 v[0:1], v[20:21], -0.5, v[0:1]
	v_add_f64 v[20:21], v[45:46], -v[59:60]
	v_add_f64 v[45:46], v[69:70], v[45:46]
	v_add_f64 v[4:5], v[4:5], -v[55:56]
	v_fma_f64 v[36:37], v[36:37], -0.5, v[69:70]
	v_add_f64 v[38:39], v[97:98], v[38:39]
	v_fma_f64 v[69:70], v[22:23], s[4:5], v[2:3]
	v_fma_f64 v[97:98], v[22:23], s[0:1], v[2:3]
	v_add_f64 v[2:3], v[28:29], v[55:56]
	v_fma_f64 v[22:23], v[20:21], s[0:1], v[0:1]
	v_fma_f64 v[0:1], v[20:21], s[4:5], v[0:1]
	;; [unrolled: 3-line block ×3, first 2 shown]
	v_lshlrev_b32_e32 v4, 3, v77
	ds_write2_b64 v131, v[57:58], v[63:64] offset1:132
	ds_write_b64 v131, v[6:7] offset:2112
	ds_write2_b64 v78, v[51:52], v[12:13] offset1:132
	ds_write_b64 v78, v[67:68] offset:2112
	ds_write2_b64 v81, v[8:9], v[14:15] offset0:12 offset1:144
	ds_write_b64 v131, v[75:76] offset:5280
	v_add3_u32 v52, 0, v4, v134
	v_lshlrev_b32_e32 v4, 3, v115
	v_add3_u32 v58, 0, v4, v134
	v_add_u32_e32 v51, 0xc00, v78
	v_add_u32_e32 v57, 0x1800, v52
	;; [unrolled: 1-line block ×3, first 2 shown]
	v_add_f64 v[49:50], v[38:39], v[49:50]
	ds_write2_b64 v51, v[26:27], v[32:33] offset0:12 offset1:144
	ds_write_b64 v78, v[16:17] offset:5280
	ds_write2_b64 v57, v[10:11], v[34:35] offset0:24 offset1:156
	ds_write_b64 v52, v[18:19] offset:8448
	;; [unrolled: 2-line block ×3, first 2 shown]
	s_waitcnt lgkmcnt(0)
	s_barrier
	ds_read_b64 v[32:33], v133
	ds_read2_b64 v[0:3], v86 offset0:74 offset1:140
	ds_read2_b64 v[4:7], v83 offset0:86 offset1:152
	ds_read2_b64 v[8:11], v81 offset0:78 offset1:144
	ds_read2_b64 v[12:15], v84 offset0:90 offset1:156
	ds_read_b64 v[36:37], v79
	ds_read2_b64 v[16:19], v82 offset0:70 offset1:136
	ds_read2_b64 v[26:29], v80 offset0:82 offset1:148
	;; [unrolled: 1-line block ×3, first 2 shown]
	ds_read_b64 v[34:35], v78
	ds_read_b64 v[38:39], v131 offset:8976
	s_waitcnt lgkmcnt(0)
	s_barrier
	ds_write2_b64 v131, v[53:54], v[73:74] offset1:132
	ds_write_b64 v131, v[61:62] offset:2112
	ds_write2_b64 v78, v[87:88], v[91:92] offset1:132
	ds_write_b64 v78, v[65:66] offset:2112
	ds_write2_b64 v81, v[89:90], v[93:94] offset0:12 offset1:144
	ds_write_b64 v131, v[101:102] offset:5280
	ds_write2_b64 v51, v[47:48], v[71:72] offset0:12 offset1:144
	;; [unrolled: 2-line block ×4, first 2 shown]
	ds_write_b64 v58, v[59:60] offset:8448
	s_waitcnt lgkmcnt(0)
	s_barrier
	s_and_saveexec_b64 s[6:7], vcc
	s_cbranch_execz .LBB0_22
; %bb.21:
	v_lshlrev_b32_e32 v45, 1, v40
	v_mov_b32_e32 v46, v117
	v_lshlrev_b64 v[45:46], 4, v[45:46]
	v_mov_b32_e32 v75, s9
	v_add_co_u32_e32 v45, vcc, s8, v45
	v_addc_co_u32_e32 v46, vcc, v75, v46, vcc
	v_add_co_u32_e32 v53, vcc, 0x1860, v45
	v_addc_co_u32_e32 v54, vcc, 0, v46, vcc
	;; [unrolled: 2-line block ×3, first 2 shown]
	global_load_dwordx4 v[45:48], v[55:56], off offset:2144
	global_load_dwordx4 v[49:52], v[53:54], off offset:16
	v_lshlrev_b32_e32 v53, 1, v41
	v_mov_b32_e32 v54, v117
	v_lshlrev_b64 v[53:54], 4, v[53:54]
	s_movk_i32 s6, 0x1000
	v_add_co_u32_e32 v57, vcc, s8, v53
	v_addc_co_u32_e32 v58, vcc, v75, v54, vcc
	v_add_co_u32_e32 v53, vcc, s6, v57
	v_addc_co_u32_e32 v54, vcc, 0, v58, vcc
	global_load_dwordx4 v[53:56], v[53:54], off offset:2144
	s_movk_i32 s7, 0x1860
	v_add_co_u32_e32 v57, vcc, s7, v57
	v_addc_co_u32_e32 v58, vcc, 0, v58, vcc
	global_load_dwordx4 v[57:60], v[57:58], off offset:16
	v_lshlrev_b32_e32 v61, 1, v42
	v_mov_b32_e32 v62, v117
	v_lshlrev_b64 v[61:62], 4, v[61:62]
	v_lshlrev_b32_e32 v63, 1, v130
	v_add_co_u32_e32 v61, vcc, s8, v61
	v_addc_co_u32_e32 v62, vcc, v75, v62, vcc
	v_add_co_u32_e32 v71, vcc, s7, v61
	v_addc_co_u32_e32 v72, vcc, 0, v62, vcc
	v_add_co_u32_e32 v73, vcc, s6, v61
	v_mov_b32_e32 v64, v117
	v_addc_co_u32_e32 v74, vcc, 0, v62, vcc
	ds_read_b64 v[105:106], v79
	ds_read_b64 v[107:108], v78
	v_lshlrev_b64 v[69:70], 4, v[63:64]
	global_load_dwordx4 v[61:64], v[73:74], off offset:2144
	global_load_dwordx4 v[65:68], v[71:72], off offset:16
	v_add_co_u32_e32 v69, vcc, s8, v69
	v_addc_co_u32_e32 v70, vcc, v75, v70, vcc
	v_add_co_u32_e32 v77, vcc, s7, v69
	v_addc_co_u32_e32 v78, vcc, 0, v70, vcc
	v_add_co_u32_e32 v79, vcc, s6, v69
	v_addc_co_u32_e32 v80, vcc, 0, v70, vcc
	global_load_dwordx4 v[69:72], v[79:80], off offset:2144
	global_load_dwordx4 v[73:76], v[77:78], off offset:16
	v_add_u32_e32 v81, 0x1400, v131
	v_add_u32_e32 v82, 0x800, v131
	;; [unrolled: 1-line block ×4, first 2 shown]
	ds_read_b64 v[93:94], v131 offset:8976
	ds_read_b64 v[109:110], v133
	ds_read2_b64 v[77:80], v81 offset0:86 offset1:152
	ds_read2_b64 v[81:84], v82 offset0:74 offset1:140
	;; [unrolled: 1-line block ×4, first 2 shown]
	v_add_co_u32_e32 v99, vcc, s7, v30
	v_addc_co_u32_e32 v100, vcc, 0, v31, vcc
	v_add_co_u32_e32 v30, vcc, s6, v30
	v_addc_co_u32_e32 v31, vcc, 0, v31, vcc
	;; [unrolled: 2-line block ×4, first 2 shown]
	s_waitcnt vmcnt(7)
	v_mul_f64 v[95:96], v[4:5], v[47:48]
	s_waitcnt vmcnt(6)
	v_mul_f64 v[97:98], v[38:39], v[51:52]
	s_waitcnt lgkmcnt(3)
	v_mul_f64 v[47:48], v[77:78], v[47:48]
	v_mul_f64 v[51:52], v[93:94], v[51:52]
	v_fma_f64 v[77:78], v[45:46], v[77:78], v[95:96]
	v_fma_f64 v[101:102], v[49:50], v[93:94], v[97:98]
	v_fma_f64 v[4:5], v[4:5], v[45:46], -v[47:48]
	v_fma_f64 v[38:39], v[38:39], v[49:50], -v[51:52]
	global_load_dwordx4 v[45:48], v[30:31], off offset:2144
	global_load_dwordx4 v[49:52], v[99:100], off offset:16
	s_waitcnt vmcnt(7)
	v_mul_f64 v[93:94], v[28:29], v[55:56]
	s_waitcnt lgkmcnt(1)
	v_mul_f64 v[30:31], v[87:88], v[55:56]
	v_add_f64 v[111:112], v[77:78], v[81:82]
	v_add_f64 v[95:96], v[77:78], v[101:102]
	;; [unrolled: 1-line block ×3, first 2 shown]
	s_waitcnt vmcnt(6) lgkmcnt(0)
	v_mul_f64 v[55:56], v[91:92], v[59:60]
	v_mul_f64 v[59:60], v[22:23], v[59:60]
	v_fma_f64 v[87:88], v[53:54], v[87:88], v[93:94]
	v_add_f64 v[103:104], v[4:5], -v[38:39]
	v_fma_f64 v[81:82], v[95:96], -0.5, v[81:82]
	global_load_dwordx4 v[93:96], v[24:25], off offset:2144
	global_load_dwordx4 v[97:100], v[120:121], off offset:16
	v_fma_f64 v[120:121], v[28:29], v[53:54], -v[30:31]
	v_fma_f64 v[122:123], v[22:23], v[57:58], -v[55:56]
	v_fma_f64 v[91:92], v[57:58], v[91:92], v[59:60]
	v_add_f64 v[53:54], v[77:78], -v[101:102]
	v_add_u32_e32 v22, 0x400, v131
	ds_read2_b64 v[57:60], v22 offset0:70 offset1:136
	v_fma_f64 v[28:29], v[113:114], -0.5, v[0:1]
	v_add_f64 v[55:56], v[101:102], v[111:112]
	v_add_f64 v[0:1], v[0:1], v[4:5]
	v_add_f64 v[4:5], v[120:121], -v[122:123]
	v_add_f64 v[77:78], v[87:88], v[91:92]
	v_add_f64 v[111:112], v[87:88], -v[91:92]
	v_fma_f64 v[24:25], v[103:104], s[0:1], v[81:82]
	v_fma_f64 v[30:31], v[103:104], s[4:5], v[81:82]
	;; [unrolled: 1-line block ×4, first 2 shown]
	v_add_f64 v[53:54], v[0:1], v[38:39]
	s_waitcnt vmcnt(7)
	v_mul_f64 v[0:1], v[26:27], v[63:64]
	s_waitcnt lgkmcnt(0)
	v_fma_f64 v[77:78], v[77:78], -0.5, v[59:60]
	v_add_f64 v[59:60], v[87:88], v[59:60]
	v_mul_f64 v[87:88], v[85:86], v[63:64]
	s_waitcnt vmcnt(6)
	v_mul_f64 v[38:39], v[20:21], v[67:68]
	v_add_f64 v[81:82], v[120:121], v[122:123]
	v_fma_f64 v[0:1], v[61:62], v[85:86], v[0:1]
	v_fma_f64 v[103:104], v[4:5], s[0:1], v[77:78]
	;; [unrolled: 1-line block ×3, first 2 shown]
	v_fma_f64 v[4:5], v[26:27], v[61:62], -v[87:88]
	v_mul_f64 v[26:27], v[89:90], v[67:68]
	v_fma_f64 v[38:39], v[65:66], v[89:90], v[38:39]
	s_waitcnt vmcnt(5)
	v_mul_f64 v[67:68], v[10:11], v[71:72]
	s_waitcnt vmcnt(4)
	v_mul_f64 v[89:90], v[14:15], v[75:76]
	v_add_f64 v[77:78], v[91:92], v[59:60]
	v_add_u32_e32 v59, 0xc00, v131
	v_add_u32_e32 v85, 0x1800, v131
	ds_read2_b64 v[59:62], v59 offset0:78 offset1:144
	v_fma_f64 v[20:21], v[20:21], v[65:66], -v[26:27]
	ds_read2_b64 v[85:88], v85 offset0:90 offset1:156
	v_fma_f64 v[81:82], v[81:82], -0.5, v[18:19]
	v_add_f64 v[26:27], v[0:1], v[38:39]
	s_waitcnt lgkmcnt(1)
	v_mul_f64 v[65:66], v[61:62], v[71:72]
	v_fma_f64 v[91:92], v[69:70], v[61:62], v[67:68]
	s_waitcnt lgkmcnt(0)
	v_mul_f64 v[71:72], v[87:88], v[75:76]
	v_fma_f64 v[89:90], v[73:74], v[87:88], v[89:90]
	v_add_f64 v[67:68], v[4:5], v[20:21]
	v_add_f64 v[18:19], v[18:19], v[120:121]
	v_fma_f64 v[101:102], v[111:112], s[4:5], v[81:82]
	v_fma_f64 v[61:62], v[111:112], s[0:1], v[81:82]
	v_add_f64 v[81:82], v[4:5], -v[20:21]
	v_fma_f64 v[26:27], v[26:27], -0.5, v[57:58]
	v_fma_f64 v[111:112], v[10:11], v[69:70], -v[65:66]
	v_fma_f64 v[14:15], v[14:15], v[73:74], -v[71:72]
	v_add_f64 v[10:11], v[91:92], v[89:90]
	v_add_f64 v[57:58], v[0:1], v[57:58]
	v_fma_f64 v[65:66], v[67:68], -0.5, v[16:17]
	v_add_f64 v[0:1], v[0:1], -v[38:39]
	v_add_f64 v[4:5], v[16:17], v[4:5]
	v_add_f64 v[75:76], v[18:19], v[122:123]
	v_fma_f64 v[18:19], v[81:82], s[0:1], v[26:27]
	v_fma_f64 v[67:68], v[81:82], s[4:5], v[26:27]
	v_add_f64 v[26:27], v[111:112], -v[14:15]
	v_fma_f64 v[10:11], v[10:11], -0.5, v[105:106]
	v_add_f64 v[71:72], v[38:39], v[57:58]
	v_add_f64 v[38:39], v[111:112], v[14:15]
	v_fma_f64 v[16:17], v[0:1], s[4:5], v[65:66]
	v_fma_f64 v[65:66], v[0:1], s[0:1], v[65:66]
	v_add_f64 v[69:70], v[4:5], v[20:21]
	s_waitcnt vmcnt(3)
	v_mul_f64 v[0:1], v[8:9], v[47:48]
	s_waitcnt vmcnt(2)
	v_mul_f64 v[4:5], v[12:13], v[51:52]
	v_add_f64 v[20:21], v[91:92], v[105:106]
	v_mul_f64 v[47:48], v[59:60], v[47:48]
	v_mul_f64 v[51:52], v[85:86], v[51:52]
	v_fma_f64 v[87:88], v[26:27], s[0:1], v[10:11]
	v_fma_f64 v[38:39], v[38:39], -0.5, v[36:37]
	v_add_f64 v[57:58], v[91:92], -v[89:90]
	v_fma_f64 v[0:1], v[45:46], v[59:60], v[0:1]
	v_fma_f64 v[59:60], v[49:50], v[85:86], v[4:5]
	;; [unrolled: 1-line block ×3, first 2 shown]
	v_add_f64 v[4:5], v[89:90], v[20:21]
	s_waitcnt vmcnt(1)
	v_mul_f64 v[20:21], v[2:3], v[95:96]
	s_waitcnt vmcnt(0)
	v_mul_f64 v[26:27], v[6:7], v[99:100]
	v_fma_f64 v[45:46], v[8:9], v[45:46], -v[47:48]
	v_fma_f64 v[49:50], v[12:13], v[49:50], -v[51:52]
	v_mul_f64 v[47:48], v[83:84], v[95:96]
	v_mul_f64 v[51:52], v[79:80], v[99:100]
	v_fma_f64 v[85:86], v[57:58], s[4:5], v[38:39]
	v_add_f64 v[12:13], v[0:1], v[59:60]
	v_fma_f64 v[20:21], v[93:94], v[83:84], v[20:21]
	v_fma_f64 v[26:27], v[97:98], v[79:80], v[26:27]
	;; [unrolled: 1-line block ×3, first 2 shown]
	v_add_f64 v[38:39], v[45:46], v[49:50]
	v_fma_f64 v[73:74], v[2:3], v[93:94], -v[47:48]
	v_fma_f64 v[6:7], v[6:7], v[97:98], -v[51:52]
	v_add_f64 v[36:37], v[36:37], v[111:112]
	v_add_f64 v[57:58], v[45:46], -v[49:50]
	v_fma_f64 v[12:13], v[12:13], -0.5, v[107:108]
	v_add_f64 v[47:48], v[20:21], v[26:27]
	v_add_f64 v[51:52], v[0:1], v[107:108]
	v_fma_f64 v[38:39], v[38:39], -0.5, v[34:35]
	v_add_f64 v[0:1], v[0:1], -v[59:60]
	v_add_f64 v[83:84], v[73:74], v[6:7]
	v_add_f64 v[2:3], v[36:37], v[14:15]
	;; [unrolled: 1-line block ×3, first 2 shown]
	v_fma_f64 v[14:15], v[57:58], s[0:1], v[12:13]
	v_add_f64 v[79:80], v[73:74], -v[6:7]
	v_fma_f64 v[81:82], v[47:48], -0.5, v[109:110]
	v_fma_f64 v[36:37], v[57:58], s[4:5], v[12:13]
	v_fma_f64 v[12:13], v[0:1], s[4:5], v[38:39]
	;; [unrolled: 1-line block ×3, first 2 shown]
	v_add_f64 v[0:1], v[20:21], v[109:110]
	v_fma_f64 v[38:39], v[83:84], -0.5, v[32:33]
	v_add_f64 v[20:21], v[20:21], -v[26:27]
	v_add_f64 v[32:33], v[32:33], v[73:74]
	v_mad_u64_u32 v[83:84], s[6:7], s2, v116, 0
	v_add_f64 v[47:48], v[59:60], v[51:52]
	v_fma_f64 v[51:52], v[79:80], s[0:1], v[81:82]
	v_fma_f64 v[59:60], v[79:80], s[4:5], v[81:82]
	v_add_f64 v[81:82], v[0:1], v[26:27]
	v_mov_b32_e32 v0, v84
	v_fma_f64 v[57:58], v[20:21], s[0:1], v[38:39]
	v_add_f64 v[79:80], v[32:33], v[6:7]
	v_mad_u64_u32 v[6:7], s[0:1], s2, v44, 0
	v_mad_u64_u32 v[0:1], s[6:7], s3, v116, v[0:1]
	v_add_f64 v[45:46], v[45:46], v[49:50]
	v_fma_f64 v[49:50], v[20:21], s[4:5], v[38:39]
	v_mad_u64_u32 v[20:21], s[0:1], s3, v44, v[7:8]
	v_mov_b32_e32 v84, v0
	v_mov_b32_e32 v0, s13
	v_add_co_u32_e32 v32, vcc, s12, v118
	v_add_u32_e32 v21, 0x318, v116
	v_addc_co_u32_e32 v33, vcc, v0, v119, vcc
	v_lshlrev_b64 v[0:1], 4, v[83:84]
	v_mad_u64_u32 v[26:27], s[0:1], s2, v21, 0
	v_add_co_u32_e32 v0, vcc, v32, v0
	v_addc_co_u32_e32 v1, vcc, v33, v1, vcc
	v_mov_b32_e32 v7, v20
	global_store_dwordx4 v[0:1], v[79:82], off
	v_lshlrev_b64 v[0:1], 4, v[6:7]
	v_mov_b32_e32 v6, v27
	v_mad_u64_u32 v[6:7], s[0:1], s3, v21, v[6:7]
	v_add_u32_e32 v20, 0x42, v116
	v_add_co_u32_e32 v0, vcc, v32, v0
	v_mov_b32_e32 v27, v6
	v_mad_u64_u32 v[6:7], s[4:5], s2, v20, 0
	v_addc_co_u32_e32 v1, vcc, v33, v1, vcc
	v_mad_u64_u32 v[20:21], s[4:5], s3, v20, v[7:8]
	global_store_dwordx4 v[0:1], v[57:60], off
	v_lshlrev_b64 v[0:1], 4, v[26:27]
	v_mad_u64_u32 v[26:27], s[4:5], s2, v43, 0
	v_add_co_u32_e32 v0, vcc, v32, v0
	v_addc_co_u32_e32 v1, vcc, v33, v1, vcc
	v_mov_b32_e32 v7, v20
	global_store_dwordx4 v[0:1], v[49:52], off
	v_lshlrev_b64 v[0:1], 4, v[6:7]
	v_mov_b32_e32 v6, v27
	v_mad_u64_u32 v[6:7], s[4:5], s3, v43, v[6:7]
	v_add_u32_e32 v20, 0x35a, v116
	v_add_co_u32_e32 v0, vcc, v32, v0
	v_mov_b32_e32 v27, v6
	v_mad_u64_u32 v[6:7], s[4:5], s2, v20, 0
	v_addc_co_u32_e32 v1, vcc, v33, v1, vcc
	v_mad_u64_u32 v[20:21], s[4:5], s3, v20, v[7:8]
	v_add_u32_e32 v21, 0x84, v116
	s_mov_b32 s1, 0xa57eb503
	global_store_dwordx4 v[0:1], v[45:48], off
	v_lshlrev_b64 v[0:1], 4, v[26:27]
	v_mul_hi_u32 v26, v21, s1
	v_add_co_u32_e32 v0, vcc, v32, v0
	v_addc_co_u32_e32 v1, vcc, v33, v1, vcc
	v_mov_b32_e32 v7, v20
	s_movk_i32 s0, 0x318
	global_store_dwordx4 v[0:1], v[34:37], off
	v_lshlrev_b64 v[0:1], 4, v[6:7]
	v_lshrrev_b32_e32 v6, 8, v26
	v_mad_u32_u24 v34, v6, s0, v21
	v_mad_u64_u32 v[6:7], s[4:5], s2, v34, 0
	v_add_co_u32_e32 v0, vcc, v32, v0
	v_mad_u64_u32 v[20:21], s[4:5], s3, v34, v[7:8]
	v_addc_co_u32_e32 v1, vcc, v33, v1, vcc
	v_mov_b32_e32 v7, v20
	global_store_dwordx4 v[0:1], v[12:15], off
	v_lshlrev_b64 v[0:1], 4, v[6:7]
	v_add_u32_e32 v21, 0x18c, v34
	v_mad_u64_u32 v[26:27], s[4:5], s2, v21, 0
	v_add_co_u32_e32 v0, vcc, v32, v0
	v_addc_co_u32_e32 v1, vcc, v33, v1, vcc
	global_store_dwordx4 v[0:1], v[2:5], off
	v_mov_b32_e32 v6, v27
	v_add_u32_e32 v4, 0x318, v34
	v_mad_u64_u32 v[2:3], s[4:5], s2, v4, 0
	v_mul_hi_u32 v5, v42, s1
	v_mad_u64_u32 v[6:7], s[4:5], s3, v21, v[6:7]
	v_mad_u64_u32 v[3:4], s[4:5], s3, v4, v[3:4]
	v_lshrrev_b32_e32 v4, 8, v5
	v_mov_b32_e32 v27, v6
	v_mad_u32_u24 v6, v4, s0, v42
	v_lshlrev_b64 v[0:1], 4, v[26:27]
	v_mad_u64_u32 v[4:5], s[4:5], s2, v6, 0
	v_add_co_u32_e32 v0, vcc, v32, v0
	v_addc_co_u32_e32 v1, vcc, v33, v1, vcc
	global_store_dwordx4 v[0:1], v[8:11], off
	v_lshlrev_b64 v[0:1], 4, v[2:3]
	v_mov_b32_e32 v2, v5
	v_mad_u64_u32 v[2:3], s[4:5], s3, v6, v[2:3]
	v_add_co_u32_e32 v0, vcc, v32, v0
	v_addc_co_u32_e32 v1, vcc, v33, v1, vcc
	v_mov_b32_e32 v5, v2
	global_store_dwordx4 v[0:1], v[85:88], off
	v_lshlrev_b64 v[0:1], 4, v[4:5]
	v_add_u32_e32 v4, 0x18c, v6
	v_mad_u64_u32 v[2:3], s[4:5], s2, v4, 0
	v_add_u32_e32 v6, 0x318, v6
	v_add_co_u32_e32 v0, vcc, v32, v0
	v_mad_u64_u32 v[3:4], s[4:5], s3, v4, v[3:4]
	v_mad_u64_u32 v[4:5], s[4:5], s2, v6, 0
	v_addc_co_u32_e32 v1, vcc, v33, v1, vcc
	global_store_dwordx4 v[0:1], v[69:72], off
	v_lshlrev_b64 v[0:1], 4, v[2:3]
	v_mov_b32_e32 v2, v5
	v_mad_u64_u32 v[2:3], s[4:5], s3, v6, v[2:3]
	v_mul_hi_u32 v3, v41, s1
	v_add_co_u32_e32 v0, vcc, v32, v0
	v_mov_b32_e32 v5, v2
	v_lshrrev_b32_e32 v2, 8, v3
	v_mad_u32_u24 v6, v2, s0, v41
	v_mad_u64_u32 v[2:3], s[4:5], s2, v6, 0
	v_addc_co_u32_e32 v1, vcc, v33, v1, vcc
	global_store_dwordx4 v[0:1], v[65:68], off
	v_lshlrev_b64 v[0:1], 4, v[4:5]
	v_mad_u64_u32 v[3:4], s[4:5], s3, v6, v[3:4]
	v_add_u32_e32 v7, 0x18c, v6
	v_mad_u64_u32 v[4:5], s[4:5], s2, v7, 0
	v_add_co_u32_e32 v0, vcc, v32, v0
	v_addc_co_u32_e32 v1, vcc, v33, v1, vcc
	global_store_dwordx4 v[0:1], v[16:19], off
	v_lshlrev_b64 v[0:1], 4, v[2:3]
	v_mov_b32_e32 v2, v5
	v_mad_u64_u32 v[2:3], s[4:5], s3, v7, v[2:3]
	v_add_co_u32_e32 v0, vcc, v32, v0
	v_addc_co_u32_e32 v1, vcc, v33, v1, vcc
	v_mov_b32_e32 v5, v2
	global_store_dwordx4 v[0:1], v[75:78], off
	v_lshlrev_b64 v[0:1], 4, v[4:5]
	v_add_u32_e32 v4, 0x318, v6
	v_mad_u64_u32 v[2:3], s[4:5], s2, v4, 0
	v_mul_hi_u32 v5, v40, s1
	v_add_co_u32_e32 v0, vcc, v32, v0
	v_mad_u64_u32 v[3:4], s[4:5], s3, v4, v[3:4]
	v_lshrrev_b32_e32 v4, 8, v5
	v_mad_u32_u24 v6, v4, s0, v40
	v_mad_u64_u32 v[4:5], s[0:1], s2, v6, 0
	v_addc_co_u32_e32 v1, vcc, v33, v1, vcc
	global_store_dwordx4 v[0:1], v[61:64], off
	v_lshlrev_b64 v[0:1], 4, v[2:3]
	v_mov_b32_e32 v2, v5
	v_mad_u64_u32 v[2:3], s[0:1], s3, v6, v[2:3]
	v_add_co_u32_e32 v0, vcc, v32, v0
	v_addc_co_u32_e32 v1, vcc, v33, v1, vcc
	v_mov_b32_e32 v5, v2
	global_store_dwordx4 v[0:1], v[101:104], off
	v_lshlrev_b64 v[0:1], 4, v[4:5]
	v_add_u32_e32 v4, 0x18c, v6
	v_mad_u64_u32 v[2:3], s[0:1], s2, v4, 0
	v_add_u32_e32 v6, 0x318, v6
	v_add_co_u32_e32 v0, vcc, v32, v0
	v_mad_u64_u32 v[3:4], s[0:1], s3, v4, v[3:4]
	v_mad_u64_u32 v[4:5], s[0:1], s2, v6, 0
	v_addc_co_u32_e32 v1, vcc, v33, v1, vcc
	global_store_dwordx4 v[0:1], v[53:56], off
	v_lshlrev_b64 v[0:1], 4, v[2:3]
	v_mov_b32_e32 v2, v5
	v_mad_u64_u32 v[2:3], s[0:1], s3, v6, v[2:3]
	v_add_co_u32_e32 v0, vcc, v32, v0
	v_addc_co_u32_e32 v1, vcc, v33, v1, vcc
	v_mov_b32_e32 v5, v2
	global_store_dwordx4 v[0:1], v[28:31], off
	v_lshlrev_b64 v[0:1], 4, v[4:5]
	v_add_co_u32_e32 v0, vcc, v32, v0
	v_addc_co_u32_e32 v1, vcc, v33, v1, vcc
	global_store_dwordx4 v[0:1], v[22:25], off
.LBB0_22:
	s_endpgm
	.section	.rodata,"a",@progbits
	.p2align	6, 0x0
	.amdhsa_kernel fft_rtc_fwd_len1188_factors_6_11_2_3_3_wgs_198_tpt_66_halfLds_dp_ip_CI_sbrr_dirReg
		.amdhsa_group_segment_fixed_size 0
		.amdhsa_private_segment_fixed_size 0
		.amdhsa_kernarg_size 88
		.amdhsa_user_sgpr_count 6
		.amdhsa_user_sgpr_private_segment_buffer 1
		.amdhsa_user_sgpr_dispatch_ptr 0
		.amdhsa_user_sgpr_queue_ptr 0
		.amdhsa_user_sgpr_kernarg_segment_ptr 1
		.amdhsa_user_sgpr_dispatch_id 0
		.amdhsa_user_sgpr_flat_scratch_init 0
		.amdhsa_user_sgpr_private_segment_size 0
		.amdhsa_uses_dynamic_stack 0
		.amdhsa_system_sgpr_private_segment_wavefront_offset 0
		.amdhsa_system_sgpr_workgroup_id_x 1
		.amdhsa_system_sgpr_workgroup_id_y 0
		.amdhsa_system_sgpr_workgroup_id_z 0
		.amdhsa_system_sgpr_workgroup_info 0
		.amdhsa_system_vgpr_workitem_id 0
		.amdhsa_next_free_vgpr 227
		.amdhsa_next_free_sgpr 40
		.amdhsa_reserve_vcc 1
		.amdhsa_reserve_flat_scratch 0
		.amdhsa_float_round_mode_32 0
		.amdhsa_float_round_mode_16_64 0
		.amdhsa_float_denorm_mode_32 3
		.amdhsa_float_denorm_mode_16_64 3
		.amdhsa_dx10_clamp 1
		.amdhsa_ieee_mode 1
		.amdhsa_fp16_overflow 0
		.amdhsa_exception_fp_ieee_invalid_op 0
		.amdhsa_exception_fp_denorm_src 0
		.amdhsa_exception_fp_ieee_div_zero 0
		.amdhsa_exception_fp_ieee_overflow 0
		.amdhsa_exception_fp_ieee_underflow 0
		.amdhsa_exception_fp_ieee_inexact 0
		.amdhsa_exception_int_div_zero 0
	.end_amdhsa_kernel
	.text
.Lfunc_end0:
	.size	fft_rtc_fwd_len1188_factors_6_11_2_3_3_wgs_198_tpt_66_halfLds_dp_ip_CI_sbrr_dirReg, .Lfunc_end0-fft_rtc_fwd_len1188_factors_6_11_2_3_3_wgs_198_tpt_66_halfLds_dp_ip_CI_sbrr_dirReg
                                        ; -- End function
	.section	.AMDGPU.csdata,"",@progbits
; Kernel info:
; codeLenInByte = 16196
; NumSgprs: 44
; NumVgprs: 227
; ScratchSize: 0
; MemoryBound: 1
; FloatMode: 240
; IeeeMode: 1
; LDSByteSize: 0 bytes/workgroup (compile time only)
; SGPRBlocks: 5
; VGPRBlocks: 56
; NumSGPRsForWavesPerEU: 44
; NumVGPRsForWavesPerEU: 227
; Occupancy: 1
; WaveLimiterHint : 1
; COMPUTE_PGM_RSRC2:SCRATCH_EN: 0
; COMPUTE_PGM_RSRC2:USER_SGPR: 6
; COMPUTE_PGM_RSRC2:TRAP_HANDLER: 0
; COMPUTE_PGM_RSRC2:TGID_X_EN: 1
; COMPUTE_PGM_RSRC2:TGID_Y_EN: 0
; COMPUTE_PGM_RSRC2:TGID_Z_EN: 0
; COMPUTE_PGM_RSRC2:TIDIG_COMP_CNT: 0
	.type	__hip_cuid_795f5979c8e4ce92,@object ; @__hip_cuid_795f5979c8e4ce92
	.section	.bss,"aw",@nobits
	.globl	__hip_cuid_795f5979c8e4ce92
__hip_cuid_795f5979c8e4ce92:
	.byte	0                               ; 0x0
	.size	__hip_cuid_795f5979c8e4ce92, 1

	.ident	"AMD clang version 19.0.0git (https://github.com/RadeonOpenCompute/llvm-project roc-6.4.0 25133 c7fe45cf4b819c5991fe208aaa96edf142730f1d)"
	.section	".note.GNU-stack","",@progbits
	.addrsig
	.addrsig_sym __hip_cuid_795f5979c8e4ce92
	.amdgpu_metadata
---
amdhsa.kernels:
  - .args:
      - .actual_access:  read_only
        .address_space:  global
        .offset:         0
        .size:           8
        .value_kind:     global_buffer
      - .offset:         8
        .size:           8
        .value_kind:     by_value
      - .actual_access:  read_only
        .address_space:  global
        .offset:         16
        .size:           8
        .value_kind:     global_buffer
      - .actual_access:  read_only
        .address_space:  global
        .offset:         24
        .size:           8
        .value_kind:     global_buffer
      - .offset:         32
        .size:           8
        .value_kind:     by_value
      - .actual_access:  read_only
        .address_space:  global
        .offset:         40
        .size:           8
        .value_kind:     global_buffer
      - .actual_access:  read_only
        .address_space:  global
        .offset:         48
        .size:           8
        .value_kind:     global_buffer
      - .offset:         56
        .size:           4
        .value_kind:     by_value
      - .actual_access:  read_only
        .address_space:  global
        .offset:         64
        .size:           8
        .value_kind:     global_buffer
      - .actual_access:  read_only
        .address_space:  global
        .offset:         72
        .size:           8
        .value_kind:     global_buffer
      - .address_space:  global
        .offset:         80
        .size:           8
        .value_kind:     global_buffer
    .group_segment_fixed_size: 0
    .kernarg_segment_align: 8
    .kernarg_segment_size: 88
    .language:       OpenCL C
    .language_version:
      - 2
      - 0
    .max_flat_workgroup_size: 198
    .name:           fft_rtc_fwd_len1188_factors_6_11_2_3_3_wgs_198_tpt_66_halfLds_dp_ip_CI_sbrr_dirReg
    .private_segment_fixed_size: 0
    .sgpr_count:     44
    .sgpr_spill_count: 0
    .symbol:         fft_rtc_fwd_len1188_factors_6_11_2_3_3_wgs_198_tpt_66_halfLds_dp_ip_CI_sbrr_dirReg.kd
    .uniform_work_group_size: 1
    .uses_dynamic_stack: false
    .vgpr_count:     227
    .vgpr_spill_count: 0
    .wavefront_size: 64
amdhsa.target:   amdgcn-amd-amdhsa--gfx906
amdhsa.version:
  - 1
  - 2
...

	.end_amdgpu_metadata
